;; amdgpu-corpus repo=ROCm/rocFFT kind=compiled arch=gfx1030 opt=O3
	.text
	.amdgcn_target "amdgcn-amd-amdhsa--gfx1030"
	.amdhsa_code_object_version 6
	.protected	bluestein_single_fwd_len242_dim1_half_op_CI_CI ; -- Begin function bluestein_single_fwd_len242_dim1_half_op_CI_CI
	.globl	bluestein_single_fwd_len242_dim1_half_op_CI_CI
	.p2align	8
	.type	bluestein_single_fwd_len242_dim1_half_op_CI_CI,@function
bluestein_single_fwd_len242_dim1_half_op_CI_CI: ; @bluestein_single_fwd_len242_dim1_half_op_CI_CI
; %bb.0:
	s_load_dwordx4 s[8:11], s[4:5], 0x28
	v_mul_u32_u24_e32 v1, 0xba3, v0
	v_lshrrev_b32_e32 v1, 16, v1
	v_mad_u64_u32 v[8:9], null, s6, 5, v[1:2]
	v_mov_b32_e32 v9, 0
                                        ; kill: def $vgpr2 killed $sgpr0 killed $exec
	s_mov_b32 s0, exec_lo
	s_waitcnt lgkmcnt(0)
	v_cmpx_gt_u64_e64 s[8:9], v[8:9]
	s_cbranch_execz .LBB0_10
; %bb.1:
	s_clause 0x1
	s_load_dwordx4 s[0:3], s[4:5], 0x18
	s_load_dwordx4 s[12:15], s[4:5], 0x0
	v_mul_lo_u16 v1, v1, 22
	v_mov_b32_e32 v7, 0xb853
	v_sub_nc_u16 v15, v0, v1
	v_and_b32_e32 v34, 0xffff, v15
	v_lshlrev_b32_e32 v40, 2, v34
	s_waitcnt lgkmcnt(0)
	s_load_dwordx4 s[16:19], s[0:1], 0x0
	s_clause 0x1
	global_load_dword v37, v40, s[12:13]
	global_load_dword v36, v40, s[12:13] offset:88
	s_waitcnt lgkmcnt(0)
	v_mad_u64_u32 v[0:1], null, s18, v8, 0
	v_mad_u64_u32 v[2:3], null, s16, v34, 0
	s_mul_i32 s0, s17, 0x58
	s_mul_hi_u32 s1, s16, 0x58
	s_mul_i32 s6, s16, 0x58
	s_add_i32 s1, s1, s0
	v_mad_u64_u32 v[4:5], null, s19, v8, v[1:2]
	v_mad_u64_u32 v[5:6], null, s17, v34, v[3:4]
	v_mov_b32_e32 v1, v4
	v_lshlrev_b64 v[0:1], 2, v[0:1]
	v_mov_b32_e32 v3, v5
	v_add_co_u32 v0, vcc_lo, s10, v0
	v_lshlrev_b64 v[2:3], 2, v[2:3]
	v_add_co_ci_u32_e32 v1, vcc_lo, s11, v1, vcc_lo
	v_add_co_u32 v0, vcc_lo, v0, v2
	v_add_co_ci_u32_e32 v1, vcc_lo, v1, v3, vcc_lo
	v_add_co_u32 v2, vcc_lo, v0, s6
	v_add_co_ci_u32_e32 v3, vcc_lo, s1, v1, vcc_lo
	s_clause 0x1
	global_load_dword v4, v[0:1], off
	global_load_dword v5, v[2:3], off
	v_add_co_u32 v0, vcc_lo, v2, s6
	v_add_co_ci_u32_e32 v1, vcc_lo, s1, v3, vcc_lo
	v_add_co_u32 v2, vcc_lo, v0, s6
	v_add_co_ci_u32_e32 v3, vcc_lo, s1, v1, vcc_lo
	global_load_dword v6, v[0:1], off
	v_add_co_u32 v0, vcc_lo, v2, s6
	v_add_co_ci_u32_e32 v1, vcc_lo, s1, v3, vcc_lo
	s_clause 0x1
	global_load_dword v35, v40, s[12:13] offset:176
	global_load_dword v33, v40, s[12:13] offset:264
	s_clause 0x1
	global_load_dword v9, v[2:3], off
	global_load_dword v10, v[0:1], off
	v_add_co_u32 v0, vcc_lo, v0, s6
	v_add_co_ci_u32_e32 v1, vcc_lo, s1, v1, vcc_lo
	s_clause 0x3
	global_load_dword v32, v40, s[12:13] offset:352
	global_load_dword v31, v40, s[12:13] offset:440
	;; [unrolled: 1-line block ×4, first 2 shown]
	v_add_co_u32 v2, vcc_lo, v0, s6
	v_add_co_ci_u32_e32 v3, vcc_lo, s1, v1, vcc_lo
	global_load_dword v11, v[0:1], off
	v_add_co_u32 v0, vcc_lo, v2, s6
	v_add_co_ci_u32_e32 v1, vcc_lo, s1, v3, vcc_lo
	global_load_dword v12, v[2:3], off
	;; [unrolled: 3-line block ×4, first 2 shown]
	v_add_co_u32 v2, vcc_lo, v0, s6
	v_add_co_ci_u32_e32 v3, vcc_lo, s1, v1, vcc_lo
	global_load_dword v28, v40, s[12:13] offset:704
	global_load_dword v0, v[0:1], off
	global_load_dword v1, v[2:3], off
	s_clause 0x1
	global_load_dword v26, v40, s[12:13] offset:792
	global_load_dword v25, v40, s[12:13] offset:880
	v_mul_hi_u32 v2, 0xcccccccd, v8
	s_load_dwordx4 s[8:11], s[2:3], 0x0
	s_load_dwordx2 s[2:3], s[4:5], 0x38
	v_cmp_gt_u16_e32 vcc_lo, 11, v15
	v_lshrrev_b32_e32 v2, 2, v2
	v_lshl_add_u32 v2, v2, 2, v2
	v_sub_nc_u32_e32 v2, v8, v2
	v_mul_u32_u24_e32 v2, 0xf2, v2
	v_lshlrev_b32_e32 v38, 2, v2
	v_add_nc_u32_e32 v27, v40, v38
	s_waitcnt vmcnt(19)
	v_lshrrev_b32_e32 v3, 16, v4
	v_mul_f16_sdwa v2, v37, v4 dst_sel:DWORD dst_unused:UNUSED_PAD src0_sel:WORD_1 src1_sel:DWORD
	s_waitcnt vmcnt(18)
	v_lshrrev_b32_e32 v17, 16, v5
	v_mul_f16_sdwa v18, v36, v5 dst_sel:DWORD dst_unused:UNUSED_PAD src0_sel:WORD_1 src1_sel:DWORD
	v_mul_f16_sdwa v16, v37, v3 dst_sel:DWORD dst_unused:UNUSED_PAD src0_sel:WORD_1 src1_sel:DWORD
	v_fma_f16 v2, v37, v3, -v2
	v_mul_f16_sdwa v3, v36, v17 dst_sel:DWORD dst_unused:UNUSED_PAD src0_sel:WORD_1 src1_sel:DWORD
	v_fma_f16 v17, v36, v17, -v18
	v_fmac_f16_e32 v16, v37, v4
	s_waitcnt vmcnt(17)
	v_lshrrev_b32_e32 v4, 16, v6
	v_fmac_f16_e32 v3, v36, v5
	s_waitcnt vmcnt(16)
	v_mul_f16_sdwa v18, v35, v6 dst_sel:DWORD dst_unused:UNUSED_PAD src0_sel:WORD_1 src1_sel:DWORD
	v_pack_b32_f16 v2, v16, v2
	s_waitcnt vmcnt(14)
	v_lshrrev_b32_e32 v16, 16, v9
	v_mul_f16_sdwa v5, v35, v4 dst_sel:DWORD dst_unused:UNUSED_PAD src0_sel:WORD_1 src1_sel:DWORD
	v_pack_b32_f16 v3, v3, v17
	v_fma_f16 v4, v35, v4, -v18
	s_waitcnt vmcnt(13)
	v_lshrrev_b32_e32 v17, 16, v10
	v_mul_f16_sdwa v19, v33, v9 dst_sel:DWORD dst_unused:UNUSED_PAD src0_sel:WORD_1 src1_sel:DWORD
	v_fmac_f16_e32 v5, v35, v6
	v_mul_f16_sdwa v6, v33, v16 dst_sel:DWORD dst_unused:UNUSED_PAD src0_sel:WORD_1 src1_sel:DWORD
	s_waitcnt vmcnt(12)
	v_mul_f16_sdwa v18, v32, v10 dst_sel:DWORD dst_unused:UNUSED_PAD src0_sel:WORD_1 src1_sel:DWORD
	ds_write2_b32 v27, v2, v3 offset1:22
	v_mul_f16_sdwa v3, v32, v17 dst_sel:DWORD dst_unused:UNUSED_PAD src0_sel:WORD_1 src1_sel:DWORD
	v_pack_b32_f16 v2, v5, v4
	s_waitcnt vmcnt(8)
	v_lshrrev_b32_e32 v4, 16, v11
	v_fma_f16 v16, v33, v16, -v19
	v_fmac_f16_e32 v6, v33, v9
	v_mul_f16_sdwa v5, v31, v11 dst_sel:DWORD dst_unused:UNUSED_PAD src0_sel:WORD_1 src1_sel:DWORD
	v_fma_f16 v9, v32, v17, -v18
	v_fmac_f16_e32 v3, v32, v10
	v_mul_f16_sdwa v10, v31, v4 dst_sel:DWORD dst_unused:UNUSED_PAD src0_sel:WORD_1 src1_sel:DWORD
	v_pack_b32_f16 v6, v6, v16
	v_fma_f16 v4, v31, v4, -v5
	s_waitcnt vmcnt(7)
	v_lshrrev_b32_e32 v5, 16, v12
	v_mul_f16_sdwa v16, v30, v12 dst_sel:DWORD dst_unused:UNUSED_PAD src0_sel:WORD_1 src1_sel:DWORD
	v_pack_b32_f16 v3, v3, v9
	v_fmac_f16_e32 v10, v31, v11
	s_waitcnt vmcnt(6)
	v_lshrrev_b32_e32 v9, 16, v13
	v_mul_f16_sdwa v11, v30, v5 dst_sel:DWORD dst_unused:UNUSED_PAD src0_sel:WORD_1 src1_sel:DWORD
	v_fma_f16 v5, v30, v5, -v16
	v_mul_f16_sdwa v16, v29, v13 dst_sel:DWORD dst_unused:UNUSED_PAD src0_sel:WORD_1 src1_sel:DWORD
	v_pack_b32_f16 v4, v10, v4
	v_mul_f16_sdwa v10, v29, v9 dst_sel:DWORD dst_unused:UNUSED_PAD src0_sel:WORD_1 src1_sel:DWORD
	v_fmac_f16_e32 v11, v30, v12
	s_waitcnt vmcnt(5)
	v_lshrrev_b32_e32 v12, 16, v14
	v_fma_f16 v9, v29, v9, -v16
	s_waitcnt vmcnt(4)
	v_mul_f16_sdwa v16, v28, v14 dst_sel:DWORD dst_unused:UNUSED_PAD src0_sel:WORD_1 src1_sel:DWORD
	v_fmac_f16_e32 v10, v29, v13
	s_waitcnt vmcnt(3)
	v_lshrrev_b32_e32 v13, 16, v0
	s_waitcnt vmcnt(2)
	v_lshrrev_b32_e32 v18, 16, v1
	v_mul_f16_sdwa v17, v28, v12 dst_sel:DWORD dst_unused:UNUSED_PAD src0_sel:WORD_1 src1_sel:DWORD
	v_fma_f16 v12, v28, v12, -v16
	s_waitcnt vmcnt(1)
	v_mul_f16_sdwa v16, v26, v0 dst_sel:DWORD dst_unused:UNUSED_PAD src0_sel:WORD_1 src1_sel:DWORD
	v_mul_f16_sdwa v19, v26, v13 dst_sel:DWORD dst_unused:UNUSED_PAD src0_sel:WORD_1 src1_sel:DWORD
	s_waitcnt vmcnt(0)
	v_mul_f16_sdwa v20, v25, v1 dst_sel:DWORD dst_unused:UNUSED_PAD src0_sel:WORD_1 src1_sel:DWORD
	v_mul_f16_sdwa v21, v25, v18 dst_sel:DWORD dst_unused:UNUSED_PAD src0_sel:WORD_1 src1_sel:DWORD
	v_fmac_f16_e32 v17, v28, v14
	v_fma_f16 v13, v26, v13, -v16
	v_fmac_f16_e32 v19, v26, v0
	v_fma_f16 v0, v25, v18, -v20
	v_fmac_f16_e32 v21, v25, v1
	v_pack_b32_f16 v1, v11, v5
	v_pack_b32_f16 v5, v10, v9
	;; [unrolled: 1-line block ×5, first 2 shown]
	ds_write2_b32 v27, v2, v6 offset0:44 offset1:66
	ds_write2_b32 v27, v3, v4 offset0:88 offset1:110
	;; [unrolled: 1-line block ×4, first 2 shown]
	ds_write_b32 v27, v0 offset:880
	s_waitcnt lgkmcnt(0)
	s_barrier
	buffer_gl0_inv
	ds_read2_b32 v[2:3], v27 offset1:22
	ds_read_b32 v6, v27 offset:880
	ds_read2_b32 v[4:5], v27 offset0:44 offset1:66
	ds_read2_b32 v[0:1], v27 offset0:176 offset1:198
	;; [unrolled: 1-line block ×4, first 2 shown]
	v_mul_lo_u16 v16, v15, 11
	v_mov_b32_e32 v10, 0xbbeb
	v_mov_b32_e32 v9, 0xba0c
	;; [unrolled: 1-line block ×4, first 2 shown]
	v_and_b32_e32 v16, 0xffff, v16
	v_mov_b32_e32 v19, 0x3beb
	v_mov_b32_e32 v20, 0x3b47
	;; [unrolled: 1-line block ×3, first 2 shown]
	s_waitcnt lgkmcnt(0)
	v_lshl_add_u32 v39, v16, 2, v38
	s_barrier
	buffer_gl0_inv
                                        ; implicit-def: $vgpr15
	v_pk_add_f16 v16, v2, v3
	v_pk_add_f16 v22, v6, v3
	v_pk_add_f16 v3, v3, v6 neg_lo:[0,1] neg_hi:[0,1]
	v_pk_add_f16 v24, v1, v4
	v_pk_add_f16 v41, v4, v1 neg_lo:[0,1] neg_hi:[0,1]
	;; [unrolled: 2-line block ×4, first 2 shown]
	v_pk_add_f16 v4, v16, v4
	v_mul_f16_sdwa v16, v3, v7 dst_sel:DWORD dst_unused:UNUSED_PAD src0_sel:WORD_1 src1_sel:DWORD
	v_pk_mul_f16 v48, 0x3abb36a6, v22
	v_lshrrev_b32_e32 v49, 16, v22
	v_mul_f16_e32 v50, 0xbb47, v3
	v_mul_f16_sdwa v51, v3, v10 dst_sel:DWORD dst_unused:UNUSED_PAD src0_sel:WORD_1 src1_sel:DWORD
	v_mul_f16_e32 v52, 0xbbeb, v3
	v_mul_f16_sdwa v53, v3, v9 dst_sel:DWORD dst_unused:UNUSED_PAD src0_sel:WORD_1 src1_sel:DWORD
	v_mul_f16_e32 v54, 0xba0c, v3
	v_lshrrev_b32_e32 v55, 16, v24
	v_mul_f16_e32 v56, 0xba0c, v41
	v_mul_f16_e32 v57, 0x3482, v41
	v_pk_mul_f16 v58, 0xbbad, v22 op_sel_hi:[0,1]
	v_mul_f16_e32 v59, 0x3beb, v41
	v_lshrrev_b32_e32 v60, 16, v42
	v_mul_f16_e32 v61, 0x3482, v43
	v_mul_f16_e32 v62, 0x3b47, v43
	;; [unrolled: 1-line block ×3, first 2 shown]
	v_lshrrev_b32_e32 v64, 16, v44
	v_mul_f16_e32 v65, 0x3beb, v45
	v_mul_f16_e32 v66, 0xb853, v45
	;; [unrolled: 1-line block ×3, first 2 shown]
	v_mul_f16_sdwa v17, v41, v17 dst_sel:DWORD dst_unused:UNUSED_PAD src0_sel:WORD_1 src1_sel:DWORD
	v_mul_f16_sdwa v18, v41, v18 dst_sel:DWORD dst_unused:UNUSED_PAD src0_sel:WORD_1 src1_sel:DWORD
	;; [unrolled: 1-line block ×3, first 2 shown]
	v_pk_mul_f16 v68, 0x36a6b93d, v24
	v_pk_add_f16 v4, v4, v5
	v_fma_f16 v5, v22, 0x3abb, -v16
	v_fmac_f16_e32 v16, 0x3abb, v22
	v_pk_fma_f16 v85, 0xbb47b853, v3, v48 op_sel:[0,0,1] op_sel_hi:[1,1,0] neg_lo:[0,1,0] neg_hi:[0,1,0]
	v_pk_fma_f16 v48, 0xbb47b853, v3, v48 op_sel:[0,0,1] op_sel_hi:[1,1,0]
	v_alignbit_b32 v23, s0, v2, 16
	v_pk_mul_f16 v69, 0x3abb, v24 op_sel_hi:[0,1]
	v_mul_f16_sdwa v10, v43, v10 dst_sel:DWORD dst_unused:UNUSED_PAD src0_sel:WORD_1 src1_sel:DWORD
	v_mul_f16_sdwa v70, v43, v20 dst_sel:DWORD dst_unused:UNUSED_PAD src0_sel:WORD_1 src1_sel:DWORD
	;; [unrolled: 1-line block ×3, first 2 shown]
	v_pk_mul_f16 v72, 0xb08ebbad, v42
	v_fmamk_f16 v86, v49, 0x36a6, v50
	v_fma_f16 v50, v49, 0x36a6, -v50
	v_fma_f16 v87, v22, 0xb08e, -v51
	v_fmamk_f16 v88, v49, 0xb08e, v52
	v_fmac_f16_e32 v51, 0xb08e, v22
	v_fma_f16 v52, v49, 0xb08e, -v52
	v_fma_f16 v89, v22, 0xb93d, -v53
	v_fmac_f16_e32 v53, 0xb93d, v22
	v_fmamk_f16 v22, v49, 0xb93d, v54
	v_fma_f16 v49, v49, 0xb93d, -v54
	v_pk_fma_f16 v54, 0xb482, v3, v58 op_sel:[0,0,1] op_sel_hi:[0,1,0] neg_lo:[0,1,0] neg_hi:[0,1,0]
	v_pk_fma_f16 v3, 0xb482, v3, v58 op_sel:[0,0,1] op_sel_hi:[0,1,0]
	v_fmamk_f16 v58, v55, 0xb93d, v56
	v_fma_f16 v56, v55, 0xb93d, -v56
	v_fmamk_f16 v90, v55, 0xbbad, v57
	v_fma_f16 v57, v55, 0xbbad, -v57
	;; [unrolled: 2-line block ×9, first 2 shown]
	v_fma_f16 v67, v24, 0x36a6, -v17
	v_fmac_f16_e32 v17, 0x36a6, v24
	v_fma_f16 v96, v24, 0xbbad, -v18
	v_fmac_f16_e32 v18, 0xbbad, v24
	;; [unrolled: 2-line block ×3, first 2 shown]
	v_pk_fma_f16 v24, 0xba0cbb47, v41, v68 op_sel:[0,0,1] op_sel_hi:[1,1,0] neg_lo:[0,1,0] neg_hi:[0,1,0]
	v_pk_fma_f16 v68, 0xba0cbb47, v41, v68 op_sel:[0,0,1] op_sel_hi:[1,1,0]
	v_pk_add_f16 v4, v4, v11
	v_add_f16_e32 v11, v2, v16
	v_bfi_b32 v16, 0xffff, v48, v85
	v_alignbit_b32 v48, s0, v48, 16
	v_pk_add_f16 v46, v13, v12
	v_pk_add_f16 v47, v12, v13 neg_lo:[0,1] neg_hi:[0,1]
	v_pk_mul_f16 v73, 0xb93d, v42 op_sel_hi:[0,1]
	v_pk_fma_f16 v98, 0x3853, v41, v69 op_sel:[0,0,1] op_sel_hi:[0,1,0] neg_lo:[0,1,0] neg_hi:[0,1,0]
	v_pk_fma_f16 v41, 0x3853, v41, v69 op_sel:[0,0,1] op_sel_hi:[0,1,0]
	v_fma_f16 v69, v42, 0xb08e, -v10
	v_fmac_f16_e32 v10, 0xb08e, v42
	v_fma_f16 v99, v42, 0x36a6, -v70
	v_fmac_f16_e32 v70, 0x36a6, v42
	;; [unrolled: 2-line block ×3, first 2 shown]
	v_pk_fma_f16 v42, 0x3482bbeb, v43, v72 op_sel:[0,0,1] op_sel_hi:[1,1,0] neg_lo:[0,1,0] neg_hi:[0,1,0]
	v_pk_fma_f16 v72, 0x3482bbeb, v43, v72 op_sel:[0,0,1] op_sel_hi:[1,1,0]
	v_alignbit_b32 v111, s0, v54, 16
	v_pk_add_f16 v23, v23, v54
	v_bfi_b32 v54, 0xffff, v68, v24
	v_alignbit_b32 v68, s0, v68, 16
	v_pk_add_f16 v4, v4, v12
	v_pk_add_f16 v12, v2, v16 op_sel:[1,0] op_sel_hi:[0,1]
	v_pk_add_f16 v16, v2, v48
	v_add_f16_sdwa v86, v2, v86 dst_sel:DWORD dst_unused:UNUSED_PAD src0_sel:WORD_1 src1_sel:DWORD
	v_add_f16_sdwa v50, v2, v50 dst_sel:DWORD dst_unused:UNUSED_PAD src0_sel:WORD_1 src1_sel:DWORD
	v_add_f16_e32 v87, v2, v87
	v_add_f16_e32 v51, v2, v51
	v_add_f16_sdwa v52, v2, v52 dst_sel:DWORD dst_unused:UNUSED_PAD src0_sel:WORD_1 src1_sel:DWORD
	v_add_f16_e32 v89, v2, v89
	v_add_f16_sdwa v22, v2, v22 dst_sel:DWORD dst_unused:UNUSED_PAD src0_sel:WORD_1 src1_sel:DWORD
	v_bfi_b32 v113, 0xffff, v72, v42
	v_alignbit_b32 v72, s0, v72, 16
	v_pk_add_f16 v4, v4, v13
	v_pk_add_f16 v13, v68, v16
	v_add_f16_sdwa v88, v2, v88 dst_sel:DWORD dst_unused:UNUSED_PAD src0_sel:WORD_1 src1_sel:DWORD
	v_add_f16_sdwa v85, v2, v85 dst_sel:DWORD dst_unused:UNUSED_PAD src0_sel:WORD_1 src1_sel:DWORD
	v_mul_f16_sdwa v7, v45, v7 dst_sel:DWORD dst_unused:UNUSED_PAD src0_sel:WORD_1 src1_sel:DWORD
	v_mul_f16_sdwa v74, v45, v9 dst_sel:DWORD dst_unused:UNUSED_PAD src0_sel:WORD_1 src1_sel:DWORD
	;; [unrolled: 1-line block ×3, first 2 shown]
	v_pk_mul_f16 v76, 0xb93db08e, v44
	v_lshrrev_b32_e32 v79, 16, v46
	v_mul_f16_e32 v80, 0x3853, v47
	v_mul_f16_e32 v81, 0x3b47, v47
	v_add_f16_e32 v5, v2, v5
	v_pk_mul_f16 v77, 0x36a6, v44 op_sel_hi:[0,1]
	v_mul_f16_sdwa v21, v47, v21 dst_sel:DWORD dst_unused:UNUSED_PAD src0_sel:WORD_1 src1_sel:DWORD
	v_pk_mul_f16 v78, 0xbbad3abb, v46
	v_mul_f16_sdwa v9, v47, v9 dst_sel:DWORD dst_unused:UNUSED_PAD src0_sel:WORD_1 src1_sel:DWORD
	v_mul_f16_sdwa v20, v47, v20 dst_sel:DWORD dst_unused:UNUSED_PAD src0_sel:WORD_1 src1_sel:DWORD
	v_pk_fma_f16 v101, 0xba0c, v43, v73 op_sel:[0,0,1] op_sel_hi:[0,1,0] neg_lo:[0,1,0] neg_hi:[0,1,0]
	v_add_f16_e32 v53, v2, v53
	v_add_f16_sdwa v49, v2, v49 dst_sel:DWORD dst_unused:UNUSED_PAD src0_sel:WORD_1 src1_sel:DWORD
	v_pk_add_f16 v3, v2, v3 op_sel:[1,0] op_sel_hi:[0,1]
	v_alignbit_b32 v112, s0, v98, 16
	v_pk_add_f16 v2, v2, v111
	v_add_f16_e32 v11, v17, v11
	v_add_f16_e32 v17, v58, v86
	;; [unrolled: 1-line block ×8, first 2 shown]
	v_pk_add_f16 v4, v4, v14
	v_pk_add_f16 v13, v72, v13
	v_add_f16_e32 v56, v90, v88
	v_add_f16_e32 v24, v24, v85
	v_pk_mul_f16 v82, 0xb08e, v46 op_sel_hi:[0,1]
	v_mul_f16_e32 v83, 0xba0c, v47
	v_pk_fma_f16 v43, 0xba0c, v43, v73 op_sel:[0,0,1] op_sel_hi:[0,1,0]
	v_fma_f16 v73, v44, 0xb93d, -v74
	v_fmac_f16_e32 v74, 0xb93d, v44
	v_fma_f16 v102, v44, 0x3abb, -v7
	v_fmac_f16_e32 v7, 0x3abb, v44
	;; [unrolled: 2-line block ×3, first 2 shown]
	v_pk_fma_f16 v44, 0x3bebba0c, v45, v76 op_sel:[0,0,1] op_sel_hi:[1,1,0] neg_lo:[0,1,0] neg_hi:[0,1,0]
	v_pk_fma_f16 v76, 0x3bebba0c, v45, v76 op_sel:[0,0,1] op_sel_hi:[1,1,0]
	v_fmamk_f16 v108, v79, 0x3abb, v80
	v_fma_f16 v80, v79, 0x3abb, -v80
	v_fmamk_f16 v109, v79, 0x36a6, v81
	v_fma_f16 v81, v79, 0x36a6, -v81
	v_mul_f16_e32 v79, 0xb93d, v79
	v_add_f16_e32 v5, v67, v5
	v_pk_add_f16 v12, v54, v12
	v_pk_fma_f16 v104, 0x3b47, v45, v77 op_sel:[0,0,1] op_sel_hi:[0,1,0] neg_lo:[0,1,0] neg_hi:[0,1,0]
	v_pk_fma_f16 v45, 0x3b47, v45, v77 op_sel:[0,0,1] op_sel_hi:[0,1,0]
	v_fma_f16 v77, v46, 0xbbad, -v21
	v_fmac_f16_e32 v21, 0xbbad, v46
	v_fma_f16 v105, v46, 0xb93d, -v9
	v_fmac_f16_e32 v9, 0xb93d, v46
	;; [unrolled: 2-line block ×3, first 2 shown]
	v_pk_fma_f16 v46, 0x3853b482, v47, v78 op_sel:[0,0,1] op_sel_hi:[1,1,0] neg_lo:[0,1,0] neg_hi:[0,1,0]
	v_pk_fma_f16 v107, 0x3853b482, v47, v78 op_sel:[0,0,1] op_sel_hi:[1,1,0]
	v_alignbit_b32 v114, s0, v101, 16
	v_pk_add_f16 v3, v41, v3
	v_pk_add_f16 v23, v98, v23
	;; [unrolled: 1-line block ×3, first 2 shown]
	v_add_f16_e32 v19, v19, v53
	v_add_f16_e32 v49, v55, v49
	v_pk_mul_f16 v84, 0x3853b482, v47
	v_add_f16_e32 v10, v10, v11
	v_add_f16_e32 v11, v59, v17
	;; [unrolled: 1-line block ×8, first 2 shown]
	v_pk_add_f16 v4, v4, v0
	v_lshlrev_b32_e32 v13, 16, v13
	v_add_f16_e32 v41, v92, v56
	v_add_f16_e32 v24, v42, v24
	v_pk_fma_f16 v110, 0xbbeb, v47, v82 op_sel:[0,0,1] op_sel_hi:[0,1,0] neg_lo:[0,1,0] neg_hi:[0,1,0]
	v_pk_fma_f16 v82, 0xbbeb, v47, v82 op_sel:[0,0,1] op_sel_hi:[0,1,0]
	v_pack_b32_f16 v66, v66, v78
	v_pk_add_f16 v78, v79, v83 neg_lo:[0,1] neg_hi:[0,1]
	v_fmamk_f16 v47, v47, 0xba0c, v79
	v_bfi_b32 v79, 0xffff, v76, v44
	v_add_f16_e32 v5, v69, v5
	v_pk_add_f16 v12, v113, v12
	v_bfi_b32 v83, 0xffff, v107, v46
	v_alignbit_b32 v107, s0, v104, 16
	v_pk_add_f16 v3, v43, v3
	v_pk_add_f16 v23, v101, v23
	;; [unrolled: 1-line block ×3, first 2 shown]
	v_add_f16_e32 v19, v71, v19
	v_add_f16_e32 v49, v60, v49
	;; [unrolled: 1-line block ×5, first 2 shown]
	v_bfi_b32 v43, 0xffff, v48, v84
	v_pk_add_f16 v1, v4, v1
	v_pk_add_f16 v4, v76, v13
	v_add_f16_e32 v10, v74, v10
	v_add_f16_e32 v11, v63, v11
	;; [unrolled: 1-line block ×7, first 2 shown]
	v_pk_add_f16 v12, v79, v12
	v_alignbit_b32 v115, s0, v110, 16
	v_pk_add_f16 v3, v45, v3
	v_pk_add_f16 v23, v104, v23
	;; [unrolled: 1-line block ×3, first 2 shown]
	v_add_f16_e32 v19, v75, v19
	v_add_f16_e32 v42, v64, v49
	;; [unrolled: 1-line block ×5, first 2 shown]
	v_pk_add_f16 v22, v66, v43
	v_bfi_b32 v4, 0xffff, v78, v4
	v_add_f16_e32 v0, v21, v10
	v_add_f16_e32 v16, v46, v16
	;; [unrolled: 1-line block ×7, first 2 shown]
	v_pk_add_f16 v12, v83, v12
	v_pk_add_f16 v3, v82, v3
	v_pk_add_f16 v21, v110, v23
	v_pk_add_f16 v2, v115, v2
	v_add_f16_e32 v19, v20, v19
	v_add_f16_e32 v20, v81, v42
	v_pk_add_f16 v4, v4, v22
	v_pack_b32_f16 v9, v9, v18
	v_pack_b32_f16 v13, v14, v17
	;; [unrolled: 1-line block ×3, first 2 shown]
	v_pk_add_f16 v1, v1, v6
	v_alignbit_b32 v6, v10, v12, 16
	v_pack_b32_f16 v5, v5, v12
	v_alignbit_b32 v14, v21, v3, 16
	v_pack_b32_f16 v2, v2, v3
	v_pack_b32_f16 v17, v19, v20
	v_alignbit_b32 v3, v11, v4, 16
	v_pack_b32_f16 v4, v7, v4
	ds_write2_b32 v39, v13, v9 offset0:3 offset1:4
	ds_write_b32 v39, v18 offset:40
	ds_write2_b32 v39, v5, v6 offset0:1 offset1:2
	ds_write2_b32 v39, v2, v14 offset0:5 offset1:6
	ds_write2_b32 v39, v1, v17 offset1:7
	ds_write2_b32 v39, v4, v3 offset0:8 offset1:9
	s_waitcnt lgkmcnt(0)
	s_barrier
	buffer_gl0_inv
	ds_read2_b32 v[4:5], v27 offset1:22
	ds_read2_b32 v[2:3], v27 offset0:88 offset1:121
	ds_read2_b32 v[11:12], v27 offset0:143 offset1:165
	;; [unrolled: 1-line block ×4, first 2 shown]
	v_add_co_u32 v13, s0, s12, v40
	v_add_co_ci_u32_e64 v14, null, s13, 0, s0
                                        ; kill: def $vgpr1 killed $sgpr0 killed $exec
	s_and_saveexec_b32 s0, vcc_lo
	s_cbranch_execz .LBB0_3
; %bb.2:
	ds_read2_b32 v[0:1], v27 offset0:110 offset1:231
	s_waitcnt lgkmcnt(0)
	v_lshrrev_b32_e32 v16, 16, v0
	v_lshrrev_b32_e32 v15, 16, v1
.LBB0_3:
	s_or_b32 exec_lo, exec_lo, s0
	v_add_nc_u16 v20, v34, 22
	v_add_nc_u16 v21, v34, 44
	;; [unrolled: 1-line block ×5, first 2 shown]
	v_and_b32_e32 v22, 0xff, v20
	v_and_b32_e32 v24, 0xff, v21
	v_add_co_u32 v17, s0, v34, -11
	v_and_b32_e32 v43, 0xff, v23
	v_mul_lo_u16 v22, 0x75, v22
	v_mul_lo_u16 v24, 0x75, v24
	v_and_b32_e32 v44, 0xff, v41
	v_and_b32_e32 v45, 0xff, v42
	v_add_co_ci_u32_e64 v18, null, 0, -1, s0
	v_lshrrev_b16 v22, 8, v22
	v_mul_lo_u16 v43, 0x75, v43
	v_lshrrev_b16 v24, 8, v24
	v_mul_lo_u16 v44, 0x75, v44
	v_mul_lo_u16 v45, 0x75, v45
	v_sub_nc_u16 v46, v20, v22
	v_cndmask_b32_e64 v18, v18, 0, vcc_lo
	v_cndmask_b32_e32 v17, v17, v34, vcc_lo
	v_lshrrev_b16 v47, 8, v43
	v_sub_nc_u16 v43, v21, v24
	v_lshrrev_b16 v46, 1, v46
	v_lshrrev_b16 v44, 8, v44
	v_lshrrev_b16 v45, 8, v45
	v_lshlrev_b64 v[18:19], 2, v[17:18]
	v_sub_nc_u16 v48, v23, v47
	v_and_b32_e32 v46, 0x7f, v46
	v_lshrrev_b16 v43, 1, v43
	v_sub_nc_u16 v49, v41, v44
	v_sub_nc_u16 v50, v42, v45
	v_add_co_u32 v18, s0, s14, v18
	v_add_co_ci_u32_e64 v19, s0, s15, v19, s0
	v_add_nc_u16 v22, v46, v22
	v_lshrrev_b16 v46, 1, v48
	v_and_b32_e32 v48, 0x7f, v43
	v_lshrrev_b16 v49, 1, v49
	v_lshrrev_b16 v50, 1, v50
	global_load_dword v43, v[18:19], off
	v_and_b32_e32 v18, 0x7f, v46
	v_lshrrev_b16 v19, 3, v22
	v_and_b32_e32 v22, 0x7f, v49
	v_add_nc_u16 v24, v48, v24
	v_and_b32_e32 v46, 0x7f, v50
	v_add_nc_u16 v18, v18, v47
	v_mul_lo_u16 v47, v19, 11
	v_add_nc_u16 v22, v22, v44
	v_lshrrev_b16 v24, 3, v24
	v_add_nc_u16 v44, v46, v45
	v_lshrrev_b16 v18, 3, v18
	v_sub_nc_u16 v20, v20, v47
	v_lshrrev_b16 v22, 3, v22
	v_mul_lo_u16 v45, v24, 11
	v_lshrrev_b16 v44, 3, v44
	v_mov_b32_e32 v47, 2
	v_mul_lo_u16 v46, v18, 11
	v_mul_lo_u16 v48, v22, 11
	v_sub_nc_u16 v21, v21, v45
	v_mul_lo_u16 v44, v44, 11
	v_lshlrev_b32_sdwa v45, v47, v20 dst_sel:DWORD dst_unused:UNUSED_PAD src0_sel:DWORD src1_sel:BYTE_0
	v_sub_nc_u16 v23, v23, v46
	v_sub_nc_u16 v49, v41, v48
	v_lshlrev_b32_sdwa v41, v47, v21 dst_sel:DWORD dst_unused:UNUSED_PAD src0_sel:DWORD src1_sel:BYTE_0
	v_sub_nc_u16 v42, v42, v44
	global_load_dword v48, v45, s[14:15]
	v_lshlrev_b32_sdwa v44, v47, v23 dst_sel:DWORD dst_unused:UNUSED_PAD src0_sel:DWORD src1_sel:BYTE_0
	v_lshlrev_b32_sdwa v47, v47, v49 dst_sel:DWORD dst_unused:UNUSED_PAD src0_sel:DWORD src1_sel:BYTE_0
	global_load_dword v46, v41, s[14:15]
	v_and_b32_e32 v41, 0xff, v42
	s_clause 0x1
	global_load_dword v45, v44, s[14:15]
	global_load_dword v44, v47, s[14:15]
	s_waitcnt lgkmcnt(3)
	v_lshrrev_b32_e32 v51, 16, v3
	v_cmp_lt_u16_e64 s0, 10, v34
	v_lshlrev_b32_e32 v42, 2, v41
	v_lshrrev_b32_e32 v50, 16, v4
	v_mov_b32_e32 v52, 22
	v_mad_u16 v19, v19, 22, v20
	v_cndmask_b32_e64 v47, 0, 22, s0
	global_load_dword v42, v42, s[14:15]
	s_waitcnt lgkmcnt(2)
	v_lshrrev_b32_e32 v54, 16, v11
	v_mul_u32_u24_sdwa v22, v22, v52 dst_sel:DWORD dst_unused:UNUSED_PAD src0_sel:WORD_0 src1_sel:DWORD
	v_mul_u32_u24_sdwa v18, v18, v52 dst_sel:DWORD dst_unused:UNUSED_PAD src0_sel:WORD_0 src1_sel:DWORD
	v_add_nc_u32_e32 v17, v17, v47
	v_lshrrev_b32_e32 v56, 16, v12
	s_waitcnt lgkmcnt(0)
	v_lshrrev_b32_e32 v58, 16, v9
	v_and_b32_e32 v19, 0xff, v19
	v_add_nc_u32_sdwa v18, v18, v23 dst_sel:DWORD dst_unused:UNUSED_PAD src0_sel:DWORD src1_sel:BYTE_0
	v_lshl_add_u32 v47, v17, 2, v38
	v_mul_u32_u24_sdwa v17, v24, v52 dst_sel:DWORD dst_unused:UNUSED_PAD src0_sel:WORD_0 src1_sel:DWORD
	v_lshrrev_b32_e32 v60, 16, v10
	s_waitcnt vmcnt(0)
	s_barrier
	buffer_gl0_inv
	v_add_nc_u32_sdwa v17, v17, v21 dst_sel:DWORD dst_unused:UNUSED_PAD src0_sel:DWORD src1_sel:BYTE_0
	v_add_nc_u32_sdwa v21, v22, v49 dst_sel:DWORD dst_unused:UNUSED_PAD src0_sel:DWORD src1_sel:BYTE_0
	v_lshl_add_u32 v52, v19, 2, v38
	v_lshrrev_b32_e32 v53, 16, v5
	v_lshrrev_b32_e32 v55, 16, v6
	v_lshl_add_u32 v49, v17, 2, v38
	v_lshrrev_b32_e32 v57, 16, v7
	v_lshrrev_b32_e32 v59, 16, v2
	v_mul_f16_sdwa v61, v51, v43 dst_sel:DWORD dst_unused:UNUSED_PAD src0_sel:DWORD src1_sel:WORD_1
	v_mul_f16_sdwa v62, v3, v43 dst_sel:DWORD dst_unused:UNUSED_PAD src0_sel:DWORD src1_sel:WORD_1
	v_fma_f16 v3, v3, v43, -v61
	v_fmac_f16_e32 v62, v51, v43
	v_lshl_add_u32 v51, v21, 2, v38
	v_sub_f16_e32 v3, v4, v3
	v_sub_f16_e32 v20, v50, v62
	v_fma_f16 v4, v4, 2.0, -v3
	v_fma_f16 v22, v50, 2.0, -v20
	v_pack_b32_f16 v3, v3, v20
	v_lshl_add_u32 v50, v18, 2, v38
	v_pack_b32_f16 v4, v4, v22
	ds_write2_b32 v47, v4, v3 offset1:11
	v_mul_f16_sdwa v3, v54, v48 dst_sel:DWORD dst_unused:UNUSED_PAD src0_sel:DWORD src1_sel:WORD_1
	v_mul_f16_sdwa v4, v11, v48 dst_sel:DWORD dst_unused:UNUSED_PAD src0_sel:DWORD src1_sel:WORD_1
	;; [unrolled: 1-line block ×8, first 2 shown]
	v_fma_f16 v3, v11, v48, -v3
	v_fmac_f16_e32 v4, v54, v48
	v_fma_f16 v11, v12, v46, -v17
	v_fmac_f16_e32 v18, v56, v46
	v_fma_f16 v9, v9, v45, -v19
	v_mul_f16_sdwa v17, v1, v42 dst_sel:DWORD dst_unused:UNUSED_PAD src0_sel:DWORD src1_sel:WORD_1
	v_fmac_f16_e32 v20, v58, v45
	v_fma_f16 v10, v10, v44, -v21
	v_fmac_f16_e32 v22, v60, v44
	v_mul_f16_sdwa v12, v15, v42 dst_sel:DWORD dst_unused:UNUSED_PAD src0_sel:DWORD src1_sel:WORD_1
	v_sub_f16_e32 v3, v5, v3
	v_sub_f16_e32 v4, v53, v4
	v_fmac_f16_e32 v17, v15, v42
	v_sub_f16_e32 v11, v6, v11
	v_sub_f16_e32 v15, v55, v18
	;; [unrolled: 1-line block ×6, first 2 shown]
	v_fma_f16 v1, v1, v42, -v12
	v_fma_f16 v5, v5, 2.0, -v3
	v_fma_f16 v20, v53, 2.0, -v4
	;; [unrolled: 1-line block ×8, first 2 shown]
	v_sub_f16_e32 v12, v0, v1
	v_pack_b32_f16 v1, v3, v4
	v_pack_b32_f16 v5, v5, v20
	v_sub_f16_e32 v53, v16, v17
	v_pack_b32_f16 v3, v11, v15
	v_pack_b32_f16 v6, v6, v21
	;; [unrolled: 1-line block ×6, first 2 shown]
	ds_write2_b32 v52, v5, v1 offset1:11
	ds_write2_b32 v49, v6, v3 offset1:11
	;; [unrolled: 1-line block ×4, first 2 shown]
	s_and_saveexec_b32 s0, vcc_lo
	s_cbranch_execz .LBB0_5
; %bb.4:
	v_fma_f16 v0, v0, 2.0, -v12
	v_fma_f16 v1, v16, 2.0, -v53
	v_lshl_add_u32 v2, v41, 2, v38
	v_pack_b32_f16 v0, v0, v1
	v_perm_b32 v1, v53, v12, 0x5040100
	ds_write2_b32 v2, v0, v1 offset0:220 offset1:231
.LBB0_5:
	s_or_b32 exec_lo, exec_lo, s0
	v_mad_u64_u32 v[9:10], null, v34, 40, s[14:15]
	s_waitcnt lgkmcnt(0)
	s_barrier
	buffer_gl0_inv
	s_add_u32 s0, s12, 0x3c8
	s_addc_u32 s1, s13, 0
	s_clause 0x2
	global_load_dwordx4 v[4:7], v[9:10], off offset:44
	global_load_dwordx4 v[0:3], v[9:10], off offset:60
	global_load_dwordx2 v[9:10], v[9:10], off offset:76
	ds_read2_b32 v[15:16], v27 offset1:22
	ds_read2_b32 v[23:24], v27 offset0:44 offset1:66
	ds_read2_b32 v[21:22], v27 offset0:88 offset1:110
	;; [unrolled: 1-line block ×4, first 2 shown]
	ds_read_b32 v11, v27 offset:880
	s_waitcnt lgkmcnt(5)
	v_lshrrev_b32_e32 v54, 16, v16
	s_waitcnt lgkmcnt(4)
	v_lshrrev_b32_e32 v55, 16, v23
	v_lshrrev_b32_e32 v56, 16, v24
	s_waitcnt lgkmcnt(3)
	v_lshrrev_b32_e32 v57, 16, v21
	s_waitcnt lgkmcnt(1)
	;; [unrolled: 2-line block ×3, first 2 shown]
	v_lshrrev_b32_e32 v63, 16, v11
	v_lshrrev_b32_e32 v58, 16, v22
	;; [unrolled: 1-line block ×5, first 2 shown]
	s_waitcnt vmcnt(2)
	v_mul_f16_sdwa v64, v54, v4 dst_sel:DWORD dst_unused:UNUSED_PAD src0_sel:DWORD src1_sel:WORD_1
	v_mul_f16_sdwa v65, v16, v4 dst_sel:DWORD dst_unused:UNUSED_PAD src0_sel:DWORD src1_sel:WORD_1
	;; [unrolled: 1-line block ×4, first 2 shown]
	s_waitcnt vmcnt(0)
	v_mul_f16_sdwa v80, v62, v9 dst_sel:DWORD dst_unused:UNUSED_PAD src0_sel:DWORD src1_sel:WORD_1
	v_mul_f16_sdwa v82, v63, v10 dst_sel:DWORD dst_unused:UNUSED_PAD src0_sel:DWORD src1_sel:WORD_1
	v_mul_f16_sdwa v83, v11, v10 dst_sel:DWORD dst_unused:UNUSED_PAD src0_sel:DWORD src1_sel:WORD_1
	v_fma_f16 v16, v16, v4, -v64
	v_fmac_f16_e32 v65, v54, v4
	v_mul_f16_sdwa v68, v56, v6 dst_sel:DWORD dst_unused:UNUSED_PAD src0_sel:DWORD src1_sel:WORD_1
	v_mul_f16_sdwa v69, v24, v6 dst_sel:DWORD dst_unused:UNUSED_PAD src0_sel:DWORD src1_sel:WORD_1
	;; [unrolled: 1-line block ×13, first 2 shown]
	v_fma_f16 v23, v23, v5, -v66
	v_fmac_f16_e32 v67, v55, v5
	v_fma_f16 v18, v18, v9, -v80
	v_fma_f16 v11, v11, v10, -v82
	v_fmac_f16_e32 v83, v63, v10
	v_add_f16_e32 v54, v15, v16
	v_add_f16_sdwa v55, v15, v65 dst_sel:DWORD dst_unused:UNUSED_PAD src0_sel:WORD_1 src1_sel:DWORD
	v_fma_f16 v24, v24, v6, -v68
	v_fmac_f16_e32 v69, v56, v6
	v_fma_f16 v21, v21, v7, -v70
	v_fmac_f16_e32 v71, v57, v7
	;; [unrolled: 2-line block ×6, first 2 shown]
	v_fmac_f16_e32 v81, v62, v9
	v_add_f16_e32 v56, v16, v11
	v_sub_f16_e32 v16, v16, v11
	v_sub_f16_e32 v58, v65, v83
	v_add_f16_e32 v59, v23, v18
	v_sub_f16_e32 v61, v23, v18
	v_add_f16_e32 v23, v54, v23
	v_add_f16_e32 v54, v55, v67
	;; [unrolled: 1-line block ×4, first 2 shown]
	v_sub_f16_e32 v62, v67, v81
	v_add_f16_e32 v63, v24, v17
	v_sub_f16_e32 v65, v24, v17
	v_sub_f16_e32 v66, v69, v79
	;; [unrolled: 1-line block ×6, first 2 shown]
	v_mul_f16_e32 v55, 0xb853, v58
	v_mul_f16_e32 v67, 0xb853, v16
	;; [unrolled: 1-line block ×10, first 2 shown]
	v_add_f16_e32 v23, v23, v24
	v_add_f16_e32 v24, v54, v69
	;; [unrolled: 1-line block ×7, first 2 shown]
	v_mul_f16_e32 v90, 0xbb47, v62
	v_mul_f16_e32 v91, 0xbb47, v61
	;; [unrolled: 1-line block ×40, first 2 shown]
	v_fma_f16 v54, v56, 0x3abb, -v55
	v_fmamk_f16 v69, v57, 0x3abb, v67
	v_fmac_f16_e32 v55, 0x3abb, v56
	v_fma_f16 v67, v57, 0x3abb, -v67
	v_fma_f16 v122, v56, 0x36a6, -v84
	v_fmamk_f16 v123, v57, 0x36a6, v85
	v_fmac_f16_e32 v84, 0x36a6, v56
	v_fma_f16 v85, v57, 0x36a6, -v85
	;; [unrolled: 4-line block ×5, first 2 shown]
	v_add_f16_e32 v21, v23, v21
	v_add_f16_e32 v23, v24, v71
	v_fma_f16 v56, v59, 0x36a6, -v90
	v_fmamk_f16 v57, v60, 0x36a6, v91
	v_fmac_f16_e32 v90, 0x36a6, v59
	v_fma_f16 v91, v60, 0x36a6, -v91
	v_fma_f16 v130, v59, 0xb93d, -v92
	v_fmamk_f16 v131, v60, 0xb93d, v93
	v_fmac_f16_e32 v92, 0xb93d, v59
	v_fma_f16 v93, v60, 0xb93d, -v93
	;; [unrolled: 4-line block ×6, first 2 shown]
	v_fma_f16 v138, v63, 0xbbad, -v100
	v_fmac_f16_e32 v100, 0xbbad, v63
	v_fma_f16 v139, v63, 0x36a6, -v102
	v_fmac_f16_e32 v102, 0x36a6, v63
	;; [unrolled: 2-line block ×4, first 2 shown]
	v_fmamk_f16 v63, v64, 0xbbad, v101
	v_fma_f16 v101, v64, 0xbbad, -v101
	v_fmamk_f16 v142, v64, 0x36a6, v103
	v_fma_f16 v103, v64, 0x36a6, -v103
	v_fmamk_f16 v143, v64, 0x3abb, v105
	v_fma_f16 v105, v64, 0x3abb, -v105
	v_fmamk_f16 v144, v64, 0xb93d, v65
	v_fma_f16 v64, v64, 0xb93d, -v65
	v_fma_f16 v65, v70, 0xb93d, -v106
	v_fmac_f16_e32 v106, 0xb93d, v70
	v_fma_f16 v145, v70, 0xb08e, -v107
	v_fmac_f16_e32 v107, 0xb08e, v70
	;; [unrolled: 2-line block ×5, first 2 shown]
	v_fmamk_f16 v70, v74, 0xb93d, v110
	v_fma_f16 v110, v74, 0xb93d, -v110
	v_fmamk_f16 v149, v74, 0xb08e, v111
	v_fma_f16 v111, v74, 0xb08e, -v111
	;; [unrolled: 2-line block ×5, first 2 shown]
	v_fma_f16 v74, v78, 0xbbad, -v114
	v_fmac_f16_e32 v114, 0xbbad, v78
	v_fma_f16 v153, v78, 0x3abb, -v115
	v_fmac_f16_e32 v115, 0x3abb, v78
	;; [unrolled: 2-line block ×5, first 2 shown]
	v_fmamk_f16 v78, v82, 0xbbad, v118
	v_fma_f16 v118, v82, 0xbbad, -v118
	v_fmamk_f16 v157, v82, 0x3abb, v119
	v_fma_f16 v119, v82, 0x3abb, -v119
	;; [unrolled: 2-line block ×5, first 2 shown]
	v_add_f16_e32 v54, v15, v54
	v_add_f16_sdwa v69, v15, v69 dst_sel:DWORD dst_unused:UNUSED_PAD src0_sel:WORD_1 src1_sel:DWORD
	v_add_f16_e32 v55, v15, v55
	v_add_f16_sdwa v67, v15, v67 dst_sel:DWORD dst_unused:UNUSED_PAD src0_sel:WORD_1 src1_sel:DWORD
	;; [unrolled: 2-line block ×10, first 2 shown]
	v_add_f16_e32 v16, v21, v22
	v_add_f16_e32 v21, v23, v73
	;; [unrolled: 1-line block ×92, first 2 shown]
	v_pack_b32_f16 v18, v19, v20
	v_pack_b32_f16 v11, v11, v16
	v_pack_b32_f16 v19, v23, v54
	v_pack_b32_f16 v17, v57, v59
	v_pack_b32_f16 v20, v62, v63
	v_pack_b32_f16 v23, v66, v24
	v_pack_b32_f16 v15, v58, v15
	v_pack_b32_f16 v16, v64, v65
	v_pack_b32_f16 v24, v60, v61
	v_pack_b32_f16 v54, v55, v56
	v_pack_b32_f16 v21, v21, v22
	ds_write2_b32 v27, v11, v18 offset1:22
	ds_write2_b32 v27, v19, v17 offset0:44 offset1:66
	ds_write2_b32 v27, v20, v23 offset0:88 offset1:110
	;; [unrolled: 1-line block ×4, first 2 shown]
	ds_write_b32 v27, v21 offset:880
	s_waitcnt lgkmcnt(0)
	s_barrier
	buffer_gl0_inv
	s_clause 0xa
	global_load_dword v21, v[13:14], off offset:968
	global_load_dword v24, v40, s[0:1] offset:88
	global_load_dword v56, v40, s[0:1] offset:176
	;; [unrolled: 1-line block ×10, first 2 shown]
	ds_read2_b32 v[13:14], v27 offset1:22
	ds_read2_b32 v[15:16], v27 offset0:44 offset1:66
	ds_read2_b32 v[17:18], v27 offset0:88 offset1:110
	;; [unrolled: 1-line block ×4, first 2 shown]
	ds_read_b32 v64, v27 offset:880
	v_mov_b32_e32 v22, 0xbb47
	v_mov_b32_e32 v11, 0x36a6
	;; [unrolled: 1-line block ×3, first 2 shown]
	s_waitcnt lgkmcnt(5)
	v_lshrrev_b32_e32 v65, 16, v13
	v_lshrrev_b32_e32 v66, 16, v14
	s_waitcnt lgkmcnt(4)
	v_lshrrev_b32_e32 v67, 16, v15
	v_lshrrev_b32_e32 v68, 16, v16
	;; [unrolled: 3-line block ×5, first 2 shown]
	s_waitcnt lgkmcnt(0)
	v_lshrrev_b32_e32 v75, 16, v64
	s_waitcnt vmcnt(10)
	v_mul_f16_sdwa v76, v65, v21 dst_sel:DWORD dst_unused:UNUSED_PAD src0_sel:DWORD src1_sel:WORD_1
	v_mul_f16_sdwa v77, v13, v21 dst_sel:DWORD dst_unused:UNUSED_PAD src0_sel:DWORD src1_sel:WORD_1
	s_waitcnt vmcnt(9)
	v_mul_f16_sdwa v78, v66, v24 dst_sel:DWORD dst_unused:UNUSED_PAD src0_sel:DWORD src1_sel:WORD_1
	v_mul_f16_sdwa v79, v14, v24 dst_sel:DWORD dst_unused:UNUSED_PAD src0_sel:DWORD src1_sel:WORD_1
	;; [unrolled: 3-line block ×11, first 2 shown]
	v_fma_f16 v13, v13, v21, -v76
	v_fmac_f16_e32 v77, v65, v21
	v_fma_f16 v14, v14, v24, -v78
	v_fmac_f16_e32 v79, v66, v24
	;; [unrolled: 2-line block ×11, first 2 shown]
	v_pack_b32_f16 v13, v13, v77
	v_pack_b32_f16 v14, v14, v79
	;; [unrolled: 1-line block ×11, first 2 shown]
	ds_write2_b32 v27, v13, v14 offset1:22
	ds_write2_b32 v27, v15, v16 offset0:44 offset1:66
	ds_write2_b32 v27, v17, v18 offset0:88 offset1:110
	;; [unrolled: 1-line block ×4, first 2 shown]
	ds_write_b32 v27, v40 offset:880
	s_waitcnt lgkmcnt(0)
	s_barrier
	buffer_gl0_inv
	ds_read2_b32 v[17:18], v27 offset1:22
	ds_read_b32 v21, v27 offset:880
	ds_read2_b32 v[54:55], v27 offset0:44 offset1:66
	ds_read2_b32 v[13:14], v27 offset0:176 offset1:198
	;; [unrolled: 1-line block ×4, first 2 shown]
	v_mov_b32_e32 v24, 0xb08e
	v_mov_b32_e32 v40, 0xba0c
	;; [unrolled: 1-line block ×11, first 2 shown]
	s_waitcnt lgkmcnt(0)
	s_barrier
	buffer_gl0_inv
	v_pk_add_f16 v65, v17, v18
	v_pk_add_f16 v66, v21, v18
	v_pk_add_f16 v18, v18, v21 neg_lo:[0,1] neg_hi:[0,1]
	v_pk_add_f16 v67, v14, v54
	v_pk_add_f16 v68, v54, v14 neg_lo:[0,1] neg_hi:[0,1]
	v_pk_add_f16 v54, v65, v54
	v_pk_add_f16 v69, v13, v55
	v_pk_add_f16 v70, v55, v13 neg_lo:[0,1] neg_hi:[0,1]
	v_pk_add_f16 v71, v16, v19
	v_pk_add_f16 v72, v19, v16 neg_lo:[0,1] neg_hi:[0,1]
	;; [unrolled: 2-line block ×3, first 2 shown]
	v_pk_mul_f16 v65, 0xb853, v18 op_sel_hi:[0,1]
	v_mul_f16_sdwa v22, v18, v22 dst_sel:DWORD dst_unused:UNUSED_PAD src0_sel:WORD_1 src1_sel:DWORD
	v_mul_f16_sdwa v76, v66, v11 dst_sel:DWORD dst_unused:UNUSED_PAD src0_sel:WORD_1 src1_sel:DWORD
	;; [unrolled: 1-line block ×4, first 2 shown]
	v_pk_mul_f16 v95, 0xbbad, v66 op_sel_hi:[0,1]
	v_mul_f16_sdwa v78, v18, v40 dst_sel:DWORD dst_unused:UNUSED_PAD src0_sel:WORD_1 src1_sel:DWORD
	v_mul_f16_sdwa v79, v66, v56 dst_sel:DWORD dst_unused:UNUSED_PAD src0_sel:WORD_1 src1_sel:DWORD
	v_pk_add_f16 v54, v54, v55
	v_pk_mul_f16 v80, 0xbb47, v68 op_sel_hi:[0,1]
	v_mul_f16_sdwa v81, v68, v40 dst_sel:DWORD dst_unused:UNUSED_PAD src0_sel:WORD_1 src1_sel:DWORD
	v_mul_f16_sdwa v82, v67, v56 dst_sel:DWORD dst_unused:UNUSED_PAD src0_sel:WORD_1 src1_sel:DWORD
	v_mul_f16_sdwa v83, v68, v57 dst_sel:DWORD dst_unused:UNUSED_PAD src0_sel:WORD_1 src1_sel:DWORD
	v_mul_f16_sdwa v84, v67, v58 dst_sel:DWORD dst_unused:UNUSED_PAD src0_sel:WORD_1 src1_sel:DWORD
	v_mul_f16_sdwa v85, v68, v59 dst_sel:DWORD dst_unused:UNUSED_PAD src0_sel:WORD_1 src1_sel:DWORD
	v_mul_f16_sdwa v86, v67, v24 dst_sel:DWORD dst_unused:UNUSED_PAD src0_sel:WORD_1 src1_sel:DWORD
	v_pk_mul_f16 v87, 0xbbeb, v70 op_sel_hi:[0,1]
	v_mul_f16_sdwa v57, v70, v57 dst_sel:DWORD dst_unused:UNUSED_PAD src0_sel:WORD_1 src1_sel:DWORD
	v_mul_f16_sdwa v88, v69, v58 dst_sel:DWORD dst_unused:UNUSED_PAD src0_sel:WORD_1 src1_sel:DWORD
	v_mul_f16_sdwa v89, v70, v60 dst_sel:DWORD dst_unused:UNUSED_PAD src0_sel:WORD_1 src1_sel:DWORD
	v_mul_f16_sdwa v90, v69, v11 dst_sel:DWORD dst_unused:UNUSED_PAD src0_sel:WORD_1 src1_sel:DWORD
	v_mul_f16_sdwa v91, v70, v61 dst_sel:DWORD dst_unused:UNUSED_PAD src0_sel:WORD_1 src1_sel:DWORD
	v_mul_f16_sdwa v92, v69, v62 dst_sel:DWORD dst_unused:UNUSED_PAD src0_sel:WORD_1 src1_sel:DWORD
	;; [unrolled: 7-line block ×3, first 2 shown]
	v_pk_mul_f16 v96, 0x3abb, v67 op_sel_hi:[0,1]
	v_pk_mul_f16 v97, 0xb93d, v69 op_sel_hi:[0,1]
	;; [unrolled: 1-line block ×3, first 2 shown]
	v_mul_f16_sdwa v64, v74, v64 dst_sel:DWORD dst_unused:UNUSED_PAD src0_sel:WORD_1 src1_sel:DWORD
	v_mul_f16_sdwa v62, v73, v62 dst_sel:DWORD dst_unused:UNUSED_PAD src0_sel:WORD_1 src1_sel:DWORD
	;; [unrolled: 1-line block ×6, first 2 shown]
	v_pk_mul_f16 v99, 0xb482, v74 op_sel_hi:[0,1]
	v_pk_mul_f16 v100, 0xb08e, v73 op_sel_hi:[0,1]
	v_pk_fma_f16 v55, 0x3abb, v66, v65 op_sel:[0,0,1] op_sel_hi:[0,1,0]
	v_pk_fma_f16 v65, 0x3abb, v66, v65 op_sel:[0,0,1] op_sel_hi:[0,1,0] neg_lo:[0,0,1] neg_hi:[0,0,1]
	v_fmamk_f16 v101, v66, 0x36a6, v22
	v_fmamk_f16 v102, v18, 0x3b47, v76
	v_fma_f16 v22, v66, 0x36a6, -v22
	v_fmac_f16_e32 v76, 0xbb47, v18
	v_fmamk_f16 v103, v66, 0xb08e, v23
	v_fmamk_f16 v104, v18, 0x3beb, v77
	v_pk_fma_f16 v120, 0xb482, v18, v95 op_sel:[0,0,1] op_sel_hi:[0,1,0]
	v_fma_f16 v23, v66, 0xb08e, -v23
	v_fmac_f16_e32 v77, 0xbbeb, v18
	v_fmamk_f16 v105, v66, 0xb93d, v78
	v_fmamk_f16 v106, v18, 0x3a0c, v79
	v_fma_f16 v66, v66, 0xb93d, -v78
	v_fmac_f16_e32 v79, 0xba0c, v18
	v_pk_add_f16 v19, v54, v19
	v_alignbit_b32 v75, s0, v17, 16
	v_pk_fma_f16 v78, 0x36a6, v67, v80 op_sel:[0,0,1] op_sel_hi:[0,1,0]
	v_pk_fma_f16 v80, 0x36a6, v67, v80 op_sel:[0,0,1] op_sel_hi:[0,1,0] neg_lo:[0,0,1] neg_hi:[0,0,1]
	v_fmamk_f16 v107, v67, 0xb93d, v81
	v_fmamk_f16 v108, v68, 0x3a0c, v82
	v_fma_f16 v81, v67, 0xb93d, -v81
	v_fmac_f16_e32 v82, 0xba0c, v68
	v_fmamk_f16 v109, v67, 0xbbad, v83
	v_fmamk_f16 v110, v68, 0xb482, v84
	v_fma_f16 v83, v67, 0xbbad, -v83
	v_fmac_f16_e32 v84, 0x3482, v68
	;; [unrolled: 4-line block ×3, first 2 shown]
	v_pk_fma_f16 v85, 0xb08e, v69, v87 op_sel:[0,0,1] op_sel_hi:[0,1,0]
	v_pk_fma_f16 v87, 0xb08e, v69, v87 op_sel:[0,0,1] op_sel_hi:[0,1,0] neg_lo:[0,0,1] neg_hi:[0,0,1]
	v_fmamk_f16 v113, v69, 0xbbad, v57
	v_fmamk_f16 v114, v70, 0xb482, v88
	v_fma_f16 v57, v69, 0xbbad, -v57
	v_fmac_f16_e32 v88, 0x3482, v70
	v_fmamk_f16 v115, v69, 0x36a6, v89
	v_fmamk_f16 v116, v70, 0xbb47, v90
	v_fma_f16 v89, v69, 0x36a6, -v89
	v_fmac_f16_e32 v90, 0x3b47, v70
	;; [unrolled: 4-line block ×3, first 2 shown]
	v_pk_fma_f16 v91, 0xb93d, v71, v93 op_sel:[0,0,1] op_sel_hi:[0,1,0]
	v_pk_fma_f16 v93, 0xb93d, v71, v93 op_sel:[0,0,1] op_sel_hi:[0,1,0] neg_lo:[0,0,1] neg_hi:[0,0,1]
	v_fmamk_f16 v119, v71, 0xb08e, v59
	v_fma_f16 v59, v71, 0xb08e, -v59
	v_pk_fma_f16 v18, 0xb482, v18, v95 op_sel:[0,0,1] op_sel_hi:[0,1,0] neg_lo:[0,1,0] neg_hi:[0,1,0]
	v_fmamk_f16 v95, v71, 0x3abb, v61
	v_fma_f16 v61, v71, 0x3abb, -v61
	v_fmamk_f16 v121, v71, 0xbbad, v63
	v_fma_f16 v63, v71, 0xbbad, -v63
	v_pk_fma_f16 v71, 0x3853, v68, v96 op_sel:[0,0,1] op_sel_hi:[0,1,0]
	v_pk_fma_f16 v68, 0x3853, v68, v96 op_sel:[0,0,1] op_sel_hi:[0,1,0] neg_lo:[0,1,0] neg_hi:[0,1,0]
	v_pk_fma_f16 v96, 0xba0c, v70, v97 op_sel:[0,0,1] op_sel_hi:[0,1,0]
	v_pk_fma_f16 v70, 0xba0c, v70, v97 op_sel:[0,0,1] op_sel_hi:[0,1,0] neg_lo:[0,1,0] neg_hi:[0,1,0]
	v_fmamk_f16 v97, v72, 0xbbeb, v24
	v_fmac_f16_e32 v24, 0x3beb, v72
	v_fmamk_f16 v122, v72, 0x3853, v94
	v_fmac_f16_e32 v94, 0xb853, v72
	;; [unrolled: 2-line block ×3, first 2 shown]
	v_pk_fma_f16 v124, 0x3b47, v72, v98 op_sel:[0,0,1] op_sel_hi:[0,1,0]
	v_pk_fma_f16 v72, 0x3b47, v72, v98 op_sel:[0,0,1] op_sel_hi:[0,1,0] neg_lo:[0,1,0] neg_hi:[0,1,0]
	v_pk_fma_f16 v98, 0xbbad, v73, v99 op_sel:[0,0,1] op_sel_hi:[0,1,0]
	v_pk_fma_f16 v99, 0xbbad, v73, v99 op_sel:[0,0,1] op_sel_hi:[0,1,0] neg_lo:[0,0,1] neg_hi:[0,0,1]
	v_fmamk_f16 v125, v73, 0x3abb, v64
	v_fma_f16 v64, v73, 0x3abb, -v64
	v_fmamk_f16 v126, v73, 0xb93d, v40
	v_fma_f16 v40, v73, 0xb93d, -v40
	;; [unrolled: 2-line block ×3, first 2 shown]
	v_fmamk_f16 v73, v74, 0xb853, v62
	v_fmac_f16_e32 v62, 0x3853, v74
	v_fmamk_f16 v128, v74, 0x3a0c, v56
	v_fmac_f16_e32 v56, 0xba0c, v74
	;; [unrolled: 2-line block ×3, first 2 shown]
	v_pk_fma_f16 v130, 0xbbeb, v74, v100 op_sel:[0,0,1] op_sel_hi:[0,1,0]
	v_pk_fma_f16 v74, 0xbbeb, v74, v100 op_sel:[0,0,1] op_sel_hi:[0,1,0] neg_lo:[0,1,0] neg_hi:[0,1,0]
	v_bfi_b32 v54, 0xffff, v55, v65
	v_add_f16_e32 v100, v17, v101
	v_add_f16_sdwa v101, v17, v102 dst_sel:DWORD dst_unused:UNUSED_PAD src0_sel:WORD_1 src1_sel:DWORD
	v_add_f16_e32 v22, v17, v22
	v_add_f16_sdwa v76, v17, v76 dst_sel:DWORD dst_unused:UNUSED_PAD src0_sel:WORD_1 src1_sel:DWORD
	v_add_f16_e32 v102, v17, v103
	v_add_f16_sdwa v103, v17, v104 dst_sel:DWORD dst_unused:UNUSED_PAD src0_sel:WORD_1 src1_sel:DWORD
	v_bfi_b32 v55, 0xffff, v65, v55
	v_alignbit_b32 v65, s0, v120, 16
	v_add_f16_e32 v23, v17, v23
	v_add_f16_sdwa v77, v17, v77 dst_sel:DWORD dst_unused:UNUSED_PAD src0_sel:WORD_1 src1_sel:DWORD
	v_add_f16_e32 v104, v17, v105
	v_add_f16_sdwa v105, v17, v106 dst_sel:DWORD dst_unused:UNUSED_PAD src0_sel:WORD_1 src1_sel:DWORD
	;; [unrolled: 2-line block ×3, first 2 shown]
	v_pk_add_f16 v19, v19, v20
	v_pk_add_f16 v18, v17, v18 op_sel:[1,0] op_sel_hi:[0,1]
	v_pk_add_f16 v75, v75, v120
	v_bfi_b32 v106, 0xffff, v78, v80
	v_bfi_b32 v78, 0xffff, v80, v78
	;; [unrolled: 1-line block ×8, first 2 shown]
	v_alignbit_b32 v99, s0, v71, 16
	v_pk_add_f16 v20, v17, v54
	v_pk_add_f16 v54, v17, v65
	;; [unrolled: 1-line block ×3, first 2 shown]
	v_add_f16_e32 v55, v107, v100
	v_add_f16_e32 v65, v108, v101
	;; [unrolled: 1-line block ×12, first 2 shown]
	v_pk_add_f16 v15, v19, v15
	v_alignbit_b32 v120, s0, v96, 16
	v_pk_add_f16 v18, v68, v18
	v_pk_add_f16 v68, v71, v75
	v_pk_add_f16 v19, v106, v20
	v_add_f16_e32 v20, v113, v55
	v_add_f16_e32 v55, v114, v65
	v_add_f16_e32 v22, v57, v22
	v_add_f16_e32 v57, v88, v76
	v_add_f16_e32 v65, v115, v81
	v_add_f16_e32 v71, v116, v82
	v_pk_add_f16 v54, v99, v54
	v_add_f16_e32 v23, v89, v23
	v_add_f16_e32 v75, v90, v77
	v_add_f16_e32 v76, v117, v83
	v_add_f16_e32 v77, v118, v84
	v_add_f16_e32 v66, v69, v66
	v_add_f16_e32 v67, v92, v67
	v_pk_add_f16 v17, v78, v17
	v_pk_add_f16 v15, v15, v16
	v_alignbit_b32 v131, s0, v124, 16
	v_pk_add_f16 v18, v70, v18
	v_pk_add_f16 v68, v96, v68
	v_pk_add_f16 v16, v80, v19
	v_add_f16_e32 v19, v119, v20
	v_add_f16_e32 v20, v97, v55
	v_add_f16_e32 v22, v59, v22
	v_add_f16_e32 v24, v24, v57
	v_add_f16_e32 v55, v95, v65
	v_add_f16_e32 v57, v122, v71
	v_pk_add_f16 v54, v120, v54
	v_add_f16_e32 v23, v61, v23
	v_add_f16_e32 v59, v94, v75
	v_add_f16_e32 v61, v121, v76
	v_add_f16_e32 v65, v123, v77
	v_add_f16_e32 v63, v63, v66
	v_add_f16_e32 v58, v58, v67
	v_pk_add_f16 v17, v85, v17
	;; [unrolled: 19-line block ×3, first 2 shown]
	v_pk_add_f16 v13, v13, v14
	v_pk_add_f16 v18, v74, v18
	;; [unrolled: 1-line block ×4, first 2 shown]
	v_pack_b32_f16 v15, v24, v55
	v_pack_b32_f16 v16, v16, v19
	v_pk_add_f16 v24, v132, v54
	v_pack_b32_f16 v19, v56, v57
	v_pack_b32_f16 v23, v23, v40
	;; [unrolled: 1-line block ×3, first 2 shown]
	v_pk_add_f16 v11, v98, v17
	v_pack_b32_f16 v17, v20, v22
	v_pk_add_f16 v13, v13, v21
	v_alignbit_b32 v54, v58, v18, 16
	ds_write2_b32 v39, v16, v15 offset0:2 offset1:3
	v_pack_b32_f16 v15, v24, v18
	ds_write_b32 v39, v19 offset:16
	ds_write2_b32 v39, v40, v23 offset0:7 offset1:8
	ds_write2_b32 v39, v17, v11 offset0:9 offset1:10
	ds_write2_b32 v39, v13, v14 offset1:1
	ds_write2_b32 v39, v15, v54 offset0:5 offset1:6
	s_waitcnt lgkmcnt(0)
	s_barrier
	buffer_gl0_inv
	ds_read2_b32 v[17:18], v27 offset1:22
	ds_read2_b32 v[13:14], v27 offset0:88 offset1:121
	ds_read2_b32 v[21:22], v27 offset0:143 offset1:165
	;; [unrolled: 1-line block ×4, first 2 shown]
	v_lshrrev_b32_e32 v23, 16, v11
	s_and_saveexec_b32 s0, vcc_lo
	s_cbranch_execz .LBB0_7
; %bb.6:
	ds_read2_b32 v[11:12], v27 offset0:110 offset1:231
	s_waitcnt lgkmcnt(0)
	v_lshrrev_b32_e32 v23, 16, v11
	v_lshrrev_b32_e32 v53, 16, v12
.LBB0_7:
	s_or_b32 exec_lo, exec_lo, s0
	s_waitcnt lgkmcnt(3)
	v_lshrrev_b32_e32 v39, 16, v14
	s_waitcnt lgkmcnt(2)
	v_lshrrev_b32_e32 v54, 16, v21
	v_lshrrev_b32_e32 v56, 16, v22
	v_mul_f16_sdwa v62, v43, v14 dst_sel:DWORD dst_unused:UNUSED_PAD src0_sel:WORD_1 src1_sel:DWORD
	s_waitcnt lgkmcnt(0)
	v_lshrrev_b32_e32 v58, 16, v19
	v_mul_f16_sdwa v60, v43, v39 dst_sel:DWORD dst_unused:UNUSED_PAD src0_sel:WORD_1 src1_sel:DWORD
	v_mul_f16_sdwa v63, v48, v54 dst_sel:DWORD dst_unused:UNUSED_PAD src0_sel:WORD_1 src1_sel:DWORD
	v_mul_f16_sdwa v64, v48, v21 dst_sel:DWORD dst_unused:UNUSED_PAD src0_sel:WORD_1 src1_sel:DWORD
	v_lshrrev_b32_e32 v61, 16, v20
	v_fma_f16 v39, v43, v39, -v62
	v_fmac_f16_e32 v60, v43, v14
	v_mul_f16_sdwa v14, v46, v56 dst_sel:DWORD dst_unused:UNUSED_PAD src0_sel:WORD_1 src1_sel:DWORD
	v_mul_f16_sdwa v43, v46, v22 dst_sel:DWORD dst_unused:UNUSED_PAD src0_sel:WORD_1 src1_sel:DWORD
	v_fmac_f16_e32 v63, v48, v21
	v_fma_f16 v21, v48, v54, -v64
	v_mul_f16_sdwa v48, v45, v19 dst_sel:DWORD dst_unused:UNUSED_PAD src0_sel:WORD_1 src1_sel:DWORD
	v_fmac_f16_e32 v14, v46, v22
	v_mul_f16_sdwa v22, v45, v58 dst_sel:DWORD dst_unused:UNUSED_PAD src0_sel:WORD_1 src1_sel:DWORD
	v_mul_f16_sdwa v54, v44, v61 dst_sel:DWORD dst_unused:UNUSED_PAD src0_sel:WORD_1 src1_sel:DWORD
	v_fma_f16 v43, v46, v56, -v43
	v_mul_f16_sdwa v46, v44, v20 dst_sel:DWORD dst_unused:UNUSED_PAD src0_sel:WORD_1 src1_sel:DWORD
	v_lshrrev_b32_e32 v24, 16, v17
	v_lshrrev_b32_e32 v40, 16, v18
	;; [unrolled: 1-line block ×4, first 2 shown]
	v_fmac_f16_e32 v22, v45, v19
	v_fma_f16 v19, v45, v58, -v48
	v_lshrrev_b32_e32 v59, 16, v13
	v_fmac_f16_e32 v54, v44, v20
	v_fma_f16 v44, v44, v61, -v46
	v_sub_f16_e32 v20, v17, v60
	v_sub_f16_e32 v39, v24, v39
	;; [unrolled: 1-line block ×10, first 2 shown]
	v_fma_f16 v17, v17, 2.0, -v20
	v_fma_f16 v24, v24, 2.0, -v39
	v_fma_f16 v18, v18, 2.0, -v45
	v_fma_f16 v40, v40, 2.0, -v21
	v_fma_f16 v15, v15, 2.0, -v14
	v_fma_f16 v48, v55, 2.0, -v43
	v_fma_f16 v16, v16, 2.0, -v22
	v_fma_f16 v54, v57, 2.0, -v19
	v_fma_f16 v13, v13, 2.0, -v46
	v_fma_f16 v55, v59, 2.0, -v44
	v_pack_b32_f16 v17, v17, v24
	v_pack_b32_f16 v20, v20, v39
	;; [unrolled: 1-line block ×10, first 2 shown]
	s_barrier
	buffer_gl0_inv
	ds_write2_b32 v47, v17, v20 offset1:11
	ds_write2_b32 v52, v18, v21 offset1:11
	;; [unrolled: 1-line block ×5, first 2 shown]
	s_and_saveexec_b32 s0, vcc_lo
	s_cbranch_execz .LBB0_9
; %bb.8:
	v_mul_f16_sdwa v13, v42, v53 dst_sel:DWORD dst_unused:UNUSED_PAD src0_sel:WORD_1 src1_sel:DWORD
	v_mul_f16_sdwa v14, v42, v12 dst_sel:DWORD dst_unused:UNUSED_PAD src0_sel:WORD_1 src1_sel:DWORD
	v_lshl_add_u32 v15, v41, 2, v38
	v_fmac_f16_e32 v13, v42, v12
	v_fma_f16 v12, v42, v53, -v14
	v_sub_f16_e32 v13, v11, v13
	v_sub_f16_e32 v12, v23, v12
	v_fma_f16 v11, v11, 2.0, -v13
	v_fma_f16 v14, v23, 2.0, -v12
	v_pack_b32_f16 v12, v13, v12
	v_pack_b32_f16 v11, v11, v14
	ds_write2_b32 v15, v11, v12 offset0:220 offset1:231
.LBB0_9:
	s_or_b32 exec_lo, exec_lo, s0
	s_waitcnt lgkmcnt(0)
	s_barrier
	buffer_gl0_inv
	ds_read2_b32 v[11:12], v27 offset1:22
	ds_read2_b32 v[13:14], v27 offset0:44 offset1:66
	ds_read2_b32 v[15:16], v27 offset0:88 offset1:110
	;; [unrolled: 1-line block ×4, first 2 shown]
	ds_read_b32 v21, v27 offset:880
	s_mov_b32 s4, 0x6be69c90
	s_mov_b32 s5, 0x3f70ecf5
	s_waitcnt lgkmcnt(5)
	v_lshrrev_b32_e32 v22, 16, v12
	s_waitcnt lgkmcnt(4)
	v_lshrrev_b32_e32 v23, 16, v13
	v_lshrrev_b32_e32 v24, 16, v14
	s_waitcnt lgkmcnt(3)
	v_lshrrev_b32_e32 v38, 16, v15
	v_mul_f16_sdwa v45, v4, v12 dst_sel:DWORD dst_unused:UNUSED_PAD src0_sel:WORD_1 src1_sel:DWORD
	v_mul_f16_sdwa v46, v5, v13 dst_sel:DWORD dst_unused:UNUSED_PAD src0_sel:WORD_1 src1_sel:DWORD
	;; [unrolled: 1-line block ×5, first 2 shown]
	v_fma_f16 v22, v4, v22, -v45
	v_mul_f16_sdwa v45, v5, v23 dst_sel:DWORD dst_unused:UNUSED_PAD src0_sel:WORD_1 src1_sel:DWORD
	v_mul_f16_sdwa v50, v6, v24 dst_sel:DWORD dst_unused:UNUSED_PAD src0_sel:WORD_1 src1_sel:DWORD
	v_fma_f16 v23, v5, v23, -v46
	v_mul_f16_sdwa v46, v7, v38 dst_sel:DWORD dst_unused:UNUSED_PAD src0_sel:WORD_1 src1_sel:DWORD
	v_fmac_f16_e32 v49, v4, v12
	v_lshrrev_b32_e32 v39, 16, v16
	v_fmac_f16_e32 v45, v5, v13
	v_fmac_f16_e32 v50, v6, v14
	v_fma_f16 v4, v6, v24, -v47
	v_fmac_f16_e32 v46, v7, v15
	v_fma_f16 v6, v7, v38, -v48
	v_add_f16_e32 v7, v11, v49
	s_waitcnt lgkmcnt(2)
	v_lshrrev_b32_e32 v40, 16, v17
	v_mul_f16_sdwa v5, v0, v39 dst_sel:DWORD dst_unused:UNUSED_PAD src0_sel:WORD_1 src1_sel:DWORD
	v_mul_f16_sdwa v12, v0, v16 dst_sel:DWORD dst_unused:UNUSED_PAD src0_sel:WORD_1 src1_sel:DWORD
	v_add_f16_sdwa v14, v11, v22 dst_sel:DWORD dst_unused:UNUSED_PAD src0_sel:WORD_1 src1_sel:DWORD
	v_add_f16_e32 v7, v7, v45
	v_lshrrev_b32_e32 v41, 16, v18
	v_mul_f16_sdwa v13, v1, v40 dst_sel:DWORD dst_unused:UNUSED_PAD src0_sel:WORD_1 src1_sel:DWORD
	v_fmac_f16_e32 v5, v0, v16
	v_fma_f16 v0, v0, v39, -v12
	v_mul_f16_sdwa v12, v1, v17 dst_sel:DWORD dst_unused:UNUSED_PAD src0_sel:WORD_1 src1_sel:DWORD
	v_add_f16_e32 v14, v14, v23
	v_add_f16_e32 v7, v7, v50
	s_waitcnt lgkmcnt(1)
	v_lshrrev_b32_e32 v42, 16, v19
	v_fmac_f16_e32 v13, v1, v17
	v_mul_f16_sdwa v15, v2, v41 dst_sel:DWORD dst_unused:UNUSED_PAD src0_sel:WORD_1 src1_sel:DWORD
	v_mul_f16_sdwa v16, v2, v18 dst_sel:DWORD dst_unused:UNUSED_PAD src0_sel:WORD_1 src1_sel:DWORD
	v_fma_f16 v1, v1, v40, -v12
	v_add_f16_e32 v12, v14, v4
	v_add_f16_e32 v7, v7, v46
	v_fmac_f16_e32 v15, v2, v18
	v_fma_f16 v2, v2, v41, -v16
	v_mul_f16_sdwa v14, v3, v42 dst_sel:DWORD dst_unused:UNUSED_PAD src0_sel:WORD_1 src1_sel:DWORD
	v_add_f16_e32 v12, v12, v6
	v_add_f16_e32 v7, v7, v5
	v_mul_f16_sdwa v16, v3, v19 dst_sel:DWORD dst_unused:UNUSED_PAD src0_sel:WORD_1 src1_sel:DWORD
	v_lshrrev_b32_e32 v43, 16, v20
	s_waitcnt lgkmcnt(0)
	v_lshrrev_b32_e32 v44, 16, v21
	v_fmac_f16_e32 v14, v3, v19
	v_add_f16_e32 v12, v12, v0
	v_add_f16_e32 v7, v7, v13
	v_fma_f16 v3, v3, v42, -v16
	v_mul_f16_sdwa v16, v10, v21 dst_sel:DWORD dst_unused:UNUSED_PAD src0_sel:WORD_1 src1_sel:DWORD
	v_mul_f16_sdwa v17, v9, v43 dst_sel:DWORD dst_unused:UNUSED_PAD src0_sel:WORD_1 src1_sel:DWORD
	v_add_f16_e32 v12, v12, v1
	v_add_f16_e32 v7, v7, v15
	v_mul_f16_sdwa v18, v9, v20 dst_sel:DWORD dst_unused:UNUSED_PAD src0_sel:WORD_1 src1_sel:DWORD
	v_mul_f16_sdwa v19, v10, v44 dst_sel:DWORD dst_unused:UNUSED_PAD src0_sel:WORD_1 src1_sel:DWORD
	v_fma_f16 v16, v10, v44, -v16
	v_fmac_f16_e32 v17, v9, v20
	v_add_f16_e32 v12, v12, v2
	v_add_f16_e32 v7, v7, v14
	v_fma_f16 v9, v9, v43, -v18
	v_fmac_f16_e32 v19, v10, v21
	v_sub_f16_e32 v10, v22, v16
	v_add_f16_e32 v12, v12, v3
	v_add_f16_e32 v7, v7, v17
	;; [unrolled: 1-line block ×4, first 2 shown]
	v_mul_f16_e32 v21, 0xb853, v10
	v_sub_f16_e32 v54, v23, v9
	v_add_f16_e32 v12, v12, v9
	v_sub_f16_e32 v22, v49, v19
	v_mul_f16_e32 v24, 0x3abb, v18
	v_fmamk_f16 v38, v20, 0x3abb, v21
	v_add_f16_e32 v7, v7, v19
	v_mul_f16_e32 v19, 0xbb47, v10
	v_mul_f16_e32 v40, 0x36a6, v18
	;; [unrolled: 1-line block ×8, first 2 shown]
	v_add_f16_e32 v56, v45, v17
	v_mul_f16_e32 v57, 0xbb47, v54
	v_add_f16_e32 v9, v23, v9
	v_add_f16_e32 v12, v12, v16
	v_fmamk_f16 v16, v22, 0x3853, v24
	v_add_f16_e32 v38, v11, v38
	v_fma_f16 v21, v20, 0x3abb, -v21
	v_fmac_f16_e32 v24, 0xb853, v22
	v_fmamk_f16 v39, v20, 0x36a6, v19
	v_fmamk_f16 v42, v22, 0x3b47, v40
	v_fma_f16 v19, v20, 0x36a6, -v19
	v_fmac_f16_e32 v40, 0xbb47, v22
	v_fmamk_f16 v43, v20, 0xb08e, v41
	v_fmamk_f16 v47, v22, 0x3beb, v44
	;; [unrolled: 4-line block ×4, first 2 shown]
	v_fma_f16 v10, v20, 0xbbad, -v10
	v_fmac_f16_e32 v18, 0xb482, v22
	v_sub_f16_e32 v17, v45, v17
	v_fmamk_f16 v20, v56, 0x36a6, v57
	v_mul_f16_e32 v22, 0x36a6, v9
	v_add_f16_sdwa v16, v11, v16 dst_sel:DWORD dst_unused:UNUSED_PAD src0_sel:WORD_1 src1_sel:DWORD
	v_add_f16_e32 v21, v11, v21
	v_add_f16_sdwa v24, v11, v24 dst_sel:DWORD dst_unused:UNUSED_PAD src0_sel:WORD_1 src1_sel:DWORD
	v_add_f16_e32 v39, v11, v39
	v_add_f16_sdwa v42, v11, v42 dst_sel:DWORD dst_unused:UNUSED_PAD src0_sel:WORD_1 src1_sel:DWORD
	v_add_f16_e32 v19, v11, v19
	v_add_f16_sdwa v40, v11, v40 dst_sel:DWORD dst_unused:UNUSED_PAD src0_sel:WORD_1 src1_sel:DWORD
	v_add_f16_e32 v43, v11, v43
	v_add_f16_sdwa v47, v11, v47 dst_sel:DWORD dst_unused:UNUSED_PAD src0_sel:WORD_1 src1_sel:DWORD
	v_add_f16_e32 v41, v11, v41
	v_add_f16_sdwa v44, v11, v44 dst_sel:DWORD dst_unused:UNUSED_PAD src0_sel:WORD_1 src1_sel:DWORD
	v_add_f16_e32 v51, v11, v51
	v_add_f16_sdwa v52, v11, v52 dst_sel:DWORD dst_unused:UNUSED_PAD src0_sel:WORD_1 src1_sel:DWORD
	v_add_f16_e32 v48, v11, v48
	v_add_f16_sdwa v49, v11, v49 dst_sel:DWORD dst_unused:UNUSED_PAD src0_sel:WORD_1 src1_sel:DWORD
	v_add_f16_e32 v53, v11, v53
	v_add_f16_sdwa v23, v11, v55 dst_sel:DWORD dst_unused:UNUSED_PAD src0_sel:WORD_1 src1_sel:DWORD
	v_add_f16_e32 v10, v11, v10
	v_add_f16_sdwa v11, v11, v18 dst_sel:DWORD dst_unused:UNUSED_PAD src0_sel:WORD_1 src1_sel:DWORD
	v_add_f16_e32 v18, v20, v38
	v_fmamk_f16 v20, v17, 0x3b47, v22
	v_mul_f16_e32 v38, 0xba0c, v54
	v_fma_f16 v45, v56, 0x36a6, -v57
	v_fmac_f16_e32 v22, 0xbb47, v17
	v_mul_f16_e32 v55, 0xb93d, v9
	v_add_f16_e32 v16, v20, v16
	v_fmamk_f16 v20, v56, 0xb93d, v38
	v_add_f16_e32 v21, v45, v21
	v_add_f16_e32 v22, v22, v24
	v_fmamk_f16 v24, v17, 0x3a0c, v55
	v_mul_f16_e32 v45, 0x3482, v54
	v_fma_f16 v38, v56, 0xb93d, -v38
	v_fmac_f16_e32 v55, 0xba0c, v17
	v_add_f16_e32 v20, v20, v39
	v_add_f16_e32 v24, v24, v42
	v_fmamk_f16 v39, v56, 0xbbad, v45
	v_mul_f16_e32 v42, 0xbbad, v9
	v_add_f16_e32 v19, v38, v19
	v_add_f16_e32 v38, v55, v40
	v_mul_f16_e32 v40, 0x3beb, v54
	v_fma_f16 v45, v56, 0xbbad, -v45
	v_mul_f16_e32 v57, 0xb08e, v9
	v_add_f16_e32 v39, v39, v43
	v_fmamk_f16 v43, v17, 0xb482, v42
	v_fmamk_f16 v55, v56, 0xb08e, v40
	v_add_f16_e32 v41, v45, v41
	v_fmamk_f16 v45, v17, 0xbbeb, v57
	v_mul_f16_e32 v9, 0x3abb, v9
	v_fma_f16 v40, v56, 0xb08e, -v40
	v_fmac_f16_e32 v57, 0x3beb, v17
	v_fmac_f16_e32 v42, 0x3482, v17
	v_add_f16_e32 v43, v43, v47
	v_mul_f16_e32 v47, 0x3853, v54
	v_add_f16_e32 v45, v45, v52
	v_fmamk_f16 v52, v17, 0xb853, v9
	v_add_f16_e32 v40, v40, v48
	v_add_f16_e32 v48, v57, v49
	v_sub_f16_e32 v49, v4, v3
	v_add_f16_e32 v3, v4, v3
	v_add_f16_e32 v42, v42, v44
	;; [unrolled: 1-line block ×3, first 2 shown]
	v_fmamk_f16 v51, v56, 0x3abb, v47
	v_add_f16_e32 v23, v52, v23
	v_add_f16_e32 v52, v50, v14
	v_mul_f16_e32 v4, 0xbbeb, v49
	v_fma_f16 v47, v56, 0x3abb, -v47
	v_fmac_f16_e32 v9, 0x3853, v17
	v_sub_f16_e32 v14, v50, v14
	v_mul_f16_e32 v17, 0xb08e, v3
	v_fmamk_f16 v50, v52, 0xb08e, v4
	v_add_f16_e32 v10, v47, v10
	v_add_f16_e32 v9, v9, v11
	v_mul_f16_e32 v11, 0x3482, v49
	v_fmamk_f16 v47, v14, 0x3beb, v17
	v_fma_f16 v4, v52, 0xb08e, -v4
	v_add_f16_e32 v18, v50, v18
	v_fmac_f16_e32 v17, 0xbbeb, v14
	v_fmamk_f16 v50, v52, 0xbbad, v11
	v_add_f16_e32 v16, v47, v16
	v_mul_f16_e32 v47, 0xbbad, v3
	v_add_f16_e32 v4, v4, v21
	v_mul_f16_e32 v21, 0x3b47, v49
	v_add_f16_e32 v51, v51, v53
	v_add_f16_e32 v17, v17, v22
	v_add_f16_e32 v20, v50, v20
	v_fmamk_f16 v22, v14, 0xb482, v47
	v_fma_f16 v11, v52, 0xbbad, -v11
	v_fmac_f16_e32 v47, 0x3482, v14
	v_mul_f16_e32 v50, 0x36a6, v3
	v_fmamk_f16 v53, v52, 0x36a6, v21
	v_add_f16_e32 v22, v22, v24
	v_add_f16_e32 v11, v11, v19
	;; [unrolled: 1-line block ×3, first 2 shown]
	v_fmamk_f16 v24, v14, 0xbb47, v50
	v_add_f16_e32 v38, v53, v39
	v_mul_f16_e32 v39, 0xb853, v49
	v_fma_f16 v21, v52, 0x36a6, -v21
	v_fmac_f16_e32 v50, 0x3b47, v14
	v_add_f16_e32 v24, v24, v43
	v_mul_f16_e32 v43, 0x3abb, v3
	v_fmamk_f16 v47, v52, 0x3abb, v39
	v_add_f16_e32 v21, v21, v41
	v_add_f16_e32 v41, v50, v42
	v_mul_f16_e32 v42, 0xba0c, v49
	v_fmamk_f16 v49, v14, 0x3853, v43
	v_add_f16_e32 v44, v47, v44
	v_fma_f16 v39, v52, 0x3abb, -v39
	v_fmac_f16_e32 v43, 0xb853, v14
	v_fmamk_f16 v47, v52, 0xb93d, v42
	v_mul_f16_e32 v3, 0xb93d, v3
	v_add_f16_e32 v45, v49, v45
	v_add_f16_e32 v39, v39, v40
	;; [unrolled: 1-line block ×4, first 2 shown]
	v_sub_f16_e32 v47, v6, v2
	v_add_f16_e32 v2, v6, v2
	v_fmamk_f16 v48, v14, 0x3a0c, v3
	v_fma_f16 v42, v52, 0xb93d, -v42
	v_add_f16_e32 v6, v46, v15
	v_mul_f16_e32 v49, 0xba0c, v47
	v_fmac_f16_e32 v3, 0xba0c, v14
	v_sub_f16_e32 v14, v46, v15
	v_mul_f16_e32 v15, 0xb93d, v2
	v_add_f16_e32 v10, v42, v10
	v_fmamk_f16 v46, v6, 0xb93d, v49
	v_add_f16_e32 v3, v3, v9
	v_mul_f16_e32 v42, 0x3beb, v47
	v_fmamk_f16 v9, v14, 0x3a0c, v15
	v_fmac_f16_e32 v15, 0xba0c, v14
	v_add_f16_e32 v23, v48, v23
	v_add_f16_e32 v18, v46, v18
	v_fma_f16 v46, v6, 0xb93d, -v49
	v_add_f16_e32 v9, v9, v16
	v_fmamk_f16 v16, v6, 0xb08e, v42
	v_mul_f16_e32 v48, 0xb08e, v2
	v_add_f16_e32 v15, v15, v17
	v_mul_f16_e32 v17, 0xb853, v47
	v_add_f16_e32 v4, v46, v4
	v_add_f16_e32 v16, v16, v20
	v_fmamk_f16 v20, v14, 0xbbeb, v48
	v_fma_f16 v42, v6, 0xb08e, -v42
	v_fmamk_f16 v46, v6, 0x3abb, v17
	v_mul_f16_e32 v49, 0x3abb, v2
	v_fma_f16 v17, v6, 0x3abb, -v17
	v_add_f16_e32 v20, v20, v22
	v_add_f16_e32 v11, v42, v11
	;; [unrolled: 1-line block ×3, first 2 shown]
	v_fmamk_f16 v38, v14, 0x3853, v49
	v_mul_f16_e32 v42, 0xb482, v47
	v_mul_f16_e32 v46, 0xbbad, v2
	v_add_f16_e32 v17, v17, v21
	v_mul_f16_e32 v47, 0x3b47, v47
	v_add_f16_e32 v24, v38, v24
	v_fmamk_f16 v38, v6, 0xbbad, v42
	v_fma_f16 v42, v6, 0xbbad, -v42
	v_fmamk_f16 v21, v14, 0x3482, v46
	v_fmac_f16_e32 v46, 0xb482, v14
	v_mul_f16_e32 v2, 0x36a6, v2
	v_add_f16_e32 v38, v38, v44
	v_add_f16_e32 v39, v42, v39
	v_sub_f16_e32 v42, v0, v1
	v_add_f16_e32 v21, v21, v45
	v_fmamk_f16 v44, v6, 0x36a6, v47
	v_add_f16_e32 v40, v46, v40
	v_add_f16_e32 v45, v5, v13
	v_mul_f16_e32 v46, 0xb482, v42
	v_add_f16_e32 v0, v0, v1
	v_add_f16_e32 v43, v44, v43
	v_fmamk_f16 v44, v14, 0xbb47, v2
	v_fma_f16 v1, v6, 0x36a6, -v47
	v_fmac_f16_e32 v2, 0x3b47, v14
	v_sub_f16_e32 v5, v5, v13
	v_fmamk_f16 v6, v45, 0xbbad, v46
	v_mul_f16_e32 v13, 0xbbad, v0
	v_fmac_f16_e32 v48, 0x3beb, v14
	v_fmac_f16_e32 v49, 0xb853, v14
	v_add_f16_e32 v14, v44, v23
	v_add_f16_e32 v1, v1, v10
	;; [unrolled: 1-line block ×4, first 2 shown]
	v_fmamk_f16 v6, v5, 0x3482, v13
	v_mul_f16_e32 v10, 0x3853, v42
	v_fma_f16 v18, v45, 0xbbad, -v46
	v_fmac_f16_e32 v13, 0xb482, v5
	v_mul_f16_e32 v23, 0x3abb, v0
	v_add_f16_e32 v6, v6, v9
	v_fmamk_f16 v9, v45, 0x3abb, v10
	v_add_f16_e32 v4, v18, v4
	v_add_f16_e32 v13, v13, v15
	v_fmamk_f16 v15, v5, 0xb853, v23
	v_mul_f16_e32 v18, 0xba0c, v42
	v_add_f16_e32 v19, v48, v19
	v_add_f16_e32 v9, v9, v16
	v_fma_f16 v10, v45, 0x3abb, -v10
	v_fmac_f16_e32 v23, 0x3853, v5
	v_add_f16_e32 v15, v15, v20
	v_fmamk_f16 v16, v45, 0xb93d, v18
	v_mul_f16_e32 v20, 0xb93d, v0
	v_add_f16_e32 v10, v10, v11
	v_add_f16_e32 v11, v23, v19
	v_mul_f16_e32 v19, 0x3b47, v42
	v_add_f16_e32 v16, v16, v22
	v_fmamk_f16 v22, v5, 0x3a0c, v20
	v_add_f16_e32 v41, v49, v41
	v_fma_f16 v18, v45, 0xb93d, -v18
	v_fmac_f16_e32 v20, 0xba0c, v5
	v_fmamk_f16 v23, v45, 0x36a6, v19
	v_mul_f16_e32 v44, 0x36a6, v0
	v_add_f16_e32 v22, v22, v24
	v_fma_f16 v19, v45, 0x36a6, -v19
	v_mul_f16_e32 v24, 0xbbeb, v42
	v_mul_f16_e32 v0, 0xb08e, v0
	v_add_f16_e32 v17, v18, v17
	v_add_f16_e32 v18, v20, v41
	;; [unrolled: 1-line block ×3, first 2 shown]
	v_fmamk_f16 v23, v5, 0xbb47, v44
	v_add_f16_e32 v19, v19, v39
	v_fmamk_f16 v38, v45, 0xb08e, v24
	v_fmamk_f16 v39, v5, 0x3beb, v0
	v_fmac_f16_e32 v44, 0x3b47, v5
	v_fma_f16 v24, v45, 0xb08e, -v24
	v_fmac_f16_e32 v0, 0xbbeb, v5
	v_pack_b32_f16 v5, v7, v12
	v_pack_b32_f16 v3, v3, v6
	v_add_f16_e32 v21, v23, v21
	v_add_f16_e32 v6, v38, v43
	;; [unrolled: 1-line block ×6, first 2 shown]
	ds_write2_b32 v27, v5, v3 offset1:22
	v_pack_b32_f16 v2, v9, v15
	v_pack_b32_f16 v3, v16, v22
	;; [unrolled: 1-line block ×9, first 2 shown]
	ds_write2_b32 v27, v2, v3 offset0:44 offset1:66
	ds_write2_b32 v27, v5, v6 offset0:88 offset1:110
	;; [unrolled: 1-line block ×4, first 2 shown]
	ds_write_b32 v27, v4 offset:880
	s_waitcnt lgkmcnt(0)
	s_barrier
	buffer_gl0_inv
	ds_read2_b32 v[0:1], v27 offset1:22
	s_waitcnt lgkmcnt(0)
	v_lshrrev_b32_e32 v4, 16, v0
	v_lshrrev_b32_e32 v12, 16, v1
	v_mul_f16_sdwa v2, v37, v4 dst_sel:DWORD dst_unused:UNUSED_PAD src0_sel:WORD_1 src1_sel:DWORD
	v_fmac_f16_e32 v2, v37, v0
	v_mul_f16_sdwa v0, v37, v0 dst_sel:DWORD dst_unused:UNUSED_PAD src0_sel:WORD_1 src1_sel:DWORD
	v_cvt_f32_f16_e32 v2, v2
	v_fma_f16 v0, v37, v4, -v0
	v_cvt_f64_f32_e32 v[2:3], v2
	v_cvt_f32_f16_e32 v0, v0
	v_cvt_f64_f32_e32 v[4:5], v0
	v_mul_f64 v[2:3], v[2:3], s[4:5]
	v_mul_f64 v[4:5], v[4:5], s[4:5]
	v_and_or_b32 v0, 0x1ff, v3, v2
	v_lshrrev_b32_e32 v2, 8, v3
	v_bfe_u32 v11, v3, 20, 11
	v_cmp_ne_u32_e32 vcc_lo, 0, v0
	v_and_or_b32 v4, 0x1ff, v5, v4
	v_sub_nc_u32_e32 v6, 0x3f1, v11
	v_lshrrev_b32_e32 v15, 8, v5
	v_bfe_u32 v16, v5, 20, 11
	v_cndmask_b32_e64 v0, 0, 1, vcc_lo
	v_cmp_ne_u32_e32 vcc_lo, 0, v4
	v_med3_i32 v9, v6, 0, 13
	v_add_nc_u32_e32 v17, 0xfffffc10, v11
	v_lshrrev_b32_e32 v5, 16, v5
	v_and_or_b32 v2, 0xffe, v2, v0
	v_mul_f16_sdwa v0, v36, v12 dst_sel:DWORD dst_unused:UNUSED_PAD src0_sel:WORD_1 src1_sel:DWORD
	v_cndmask_b32_e64 v4, 0, 1, vcc_lo
	v_or_b32_e32 v13, 0x1000, v2
	v_fmac_f16_e32 v0, v36, v1
	v_and_or_b32 v4, 0xffe, v15, v4
	v_sub_nc_u32_e32 v15, 0x3f1, v16
	v_lshrrev_b32_e32 v14, v9, v13
	v_cvt_f32_f16_e32 v0, v0
	v_or_b32_e32 v18, 0x1000, v4
	v_med3_i32 v15, v15, 0, 13
	v_cvt_f64_f32_e32 v[6:7], v0
	v_lshlrev_b32_e32 v0, v9, v14
	v_mad_u64_u32 v[9:10], null, s10, v8, 0
	v_lshrrev_b32_e32 v19, v15, v18
	v_cmp_ne_u32_e32 vcc_lo, v0, v13
	v_mov_b32_e32 v0, v10
	v_cndmask_b32_e64 v13, 0, 1, vcc_lo
	v_cmp_gt_i32_e32 vcc_lo, 1, v17
	v_mad_u64_u32 v[10:11], null, s11, v8, v[0:1]
	v_or_b32_e32 v13, v14, v13
	v_lshl_or_b32 v14, v17, 12, v2
	v_lshlrev_b32_e32 v8, v15, v19
	v_mul_f16_sdwa v1, v36, v1 dst_sel:DWORD dst_unused:UNUSED_PAD src0_sel:WORD_1 src1_sel:DWORD
	v_mul_f64 v[6:7], v[6:7], s[4:5]
	v_cndmask_b32_e32 v0, v14, v13, vcc_lo
	v_cmp_ne_u32_e32 vcc_lo, v8, v18
	v_add_nc_u32_e32 v13, 0xfffffc10, v16
	v_fma_f16 v1, v36, v12, -v1
	v_and_b32_e32 v11, 7, v0
	v_cndmask_b32_e64 v8, 0, 1, vcc_lo
	v_lshrrev_b32_e32 v0, 2, v0
	v_lshl_or_b32 v14, v13, 12, v4
	v_cmp_gt_i32_e64 s1, 1, v13
	v_cmp_lt_i32_e32 vcc_lo, 5, v11
	v_cmp_eq_u32_e64 s0, 3, v11
	v_or_b32_e32 v8, v19, v8
	v_cvt_f32_f16_e32 v1, v1
	s_or_b32 vcc_lo, s0, vcc_lo
	v_cndmask_b32_e64 v8, v14, v8, s1
	v_add_co_ci_u32_e32 v11, vcc_lo, 0, v0, vcc_lo
	v_cmp_gt_i32_e32 vcc_lo, 31, v17
	v_and_or_b32 v6, 0x1ff, v7, v6
	v_cvt_f64_f32_e32 v[0:1], v1
	v_and_b32_e32 v12, 7, v8
	v_lshrrev_b32_e32 v8, 2, v8
	v_cndmask_b32_e32 v14, 0x7c00, v11, vcc_lo
	v_cmp_ne_u32_e32 vcc_lo, 0, v2
	v_cmp_ne_u32_e64 s0, 0, v6
	v_lshrrev_b32_e32 v11, 8, v7
	v_bfe_u32 v15, v7, 20, 11
	v_cndmask_b32_e64 v2, 0, 1, vcc_lo
	v_cmp_lt_i32_e32 vcc_lo, 5, v12
	v_cndmask_b32_e64 v6, 0, 1, s0
	v_cmp_eq_u32_e64 s0, 3, v12
	v_lshl_or_b32 v2, v2, 9, 0x7c00
	v_and_or_b32 v6, 0xffe, v11, v6
	s_or_b32 vcc_lo, s0, vcc_lo
	v_sub_nc_u32_e32 v11, 0x3f1, v15
	v_add_co_ci_u32_e32 v8, vcc_lo, 0, v8, vcc_lo
	v_cmp_ne_u32_e32 vcc_lo, 0, v4
	v_or_b32_e32 v16, 0x1000, v6
	v_med3_i32 v18, v11, 0, 13
	v_mul_f64 v[0:1], v[0:1], s[4:5]
	ds_read2_b32 v[11:12], v27 offset0:44 offset1:66
	v_cndmask_b32_e64 v4, 0, 1, vcc_lo
	v_cmp_gt_i32_e32 vcc_lo, 31, v13
	v_lshrrev_b32_e32 v19, v18, v16
	v_lshl_or_b32 v4, v4, 9, 0x7c00
	v_cndmask_b32_e32 v8, 0x7c00, v8, vcc_lo
	v_cmp_eq_u32_e32 vcc_lo, 0x40f, v17
	v_lshlrev_b32_e32 v18, v18, v19
	v_lshrrev_b32_e32 v17, 16, v3
	v_cndmask_b32_e32 v14, v14, v2, vcc_lo
	v_cmp_eq_u32_e32 vcc_lo, 0x40f, v13
	v_add_nc_u32_e32 v13, 0xfffffc10, v15
	v_mad_u64_u32 v[2:3], null, s8, v34, 0
	v_and_or_b32 v14, 0x8000, v17, v14
	v_cndmask_b32_e32 v4, v8, v4, vcc_lo
	v_cmp_ne_u32_e32 vcc_lo, v18, v16
	s_waitcnt lgkmcnt(0)
	v_lshrrev_b32_e32 v16, 16, v11
	v_lshrrev_b32_e32 v18, 8, v1
	v_and_b32_e32 v14, 0xffff, v14
	v_and_or_b32 v15, 0x8000, v5, v4
	v_cndmask_b32_e64 v8, 0, 1, vcc_lo
	v_lshl_or_b32 v5, v13, 12, v6
	v_cmp_gt_i32_e32 vcc_lo, 1, v13
	v_lshl_or_b32 v14, v15, 16, v14
	v_or_b32_e32 v4, v19, v8
	v_and_or_b32 v8, 0x1ff, v1, v0
	v_mov_b32_e32 v0, v3
	v_bfe_u32 v19, v1, 20, 11
	v_cndmask_b32_e32 v17, v5, v4, vcc_lo
	v_cmp_ne_u32_e32 vcc_lo, 0, v8
	v_mul_f16_sdwa v8, v35, v16 dst_sel:DWORD dst_unused:UNUSED_PAD src0_sel:WORD_1 src1_sel:DWORD
	v_mad_u64_u32 v[3:4], null, s9, v34, v[0:1]
	v_sub_nc_u32_e32 v4, 0x3f1, v19
	v_cndmask_b32_e64 v5, 0, 1, vcc_lo
	v_fmac_f16_e32 v8, v35, v11
	v_and_b32_e32 v0, 7, v17
	v_and_or_b32 v18, 0xffe, v18, v5
	v_cvt_f32_f16_e32 v5, v8
	v_med3_i32 v8, v4, 0, 13
	v_cmp_lt_i32_e32 vcc_lo, 5, v0
	v_cmp_eq_u32_e64 s0, 3, v0
	v_or_b32_e32 v20, 0x1000, v18
	v_lshrrev_b32_e32 v0, 2, v17
	v_cvt_f64_f32_e32 v[4:5], v5
	v_lshlrev_b64 v[2:3], 2, v[2:3]
	s_or_b32 vcc_lo, s0, vcc_lo
	v_lshrrev_b32_e32 v17, v8, v20
	v_add_co_ci_u32_e32 v0, vcc_lo, 0, v0, vcc_lo
	v_cmp_gt_i32_e32 vcc_lo, 31, v13
	v_lshlrev_b32_e32 v15, v8, v17
	v_lshlrev_b64 v[8:9], 2, v[9:10]
	v_mul_f16_sdwa v10, v35, v11 dst_sel:DWORD dst_unused:UNUSED_PAD src0_sel:WORD_1 src1_sel:DWORD
	v_cndmask_b32_e32 v0, 0x7c00, v0, vcc_lo
	v_cmp_ne_u32_e32 vcc_lo, v15, v20
	v_add_nc_u32_e32 v15, 0xfffffc10, v19
	v_fma_f16 v10, v35, v16, -v10
	v_cndmask_b32_e64 v11, 0, 1, vcc_lo
	v_cmp_ne_u32_e32 vcc_lo, 0, v6
	v_lshl_or_b32 v16, v15, 12, v18
	v_cvt_f32_f16_e32 v10, v10
	v_mul_f64 v[4:5], v[4:5], s[4:5]
	v_or_b32_e32 v11, v17, v11
	v_cndmask_b32_e64 v6, 0, 1, vcc_lo
	v_cmp_gt_i32_e32 vcc_lo, 1, v15
	v_lshl_or_b32 v6, v6, 9, 0x7c00
	v_cndmask_b32_e32 v16, v16, v11, vcc_lo
	v_cvt_f64_f32_e32 v[10:11], v10
	v_add_co_u32 v8, vcc_lo, s2, v8
	v_add_co_ci_u32_e32 v9, vcc_lo, s3, v9, vcc_lo
	v_cmp_eq_u32_e32 vcc_lo, 0x40f, v13
	v_and_b32_e32 v17, 7, v16
	v_add_co_u32 v2, s1, v8, v2
	v_add_co_ci_u32_e64 v3, s1, v9, v3, s1
	v_cndmask_b32_e32 v0, v0, v6, vcc_lo
	v_lshrrev_b32_e32 v6, 16, v7
	v_cmp_lt_i32_e32 vcc_lo, 5, v17
	v_cmp_eq_u32_e64 s0, 3, v17
	v_lshrrev_b32_e32 v7, 2, v16
	v_lshrrev_b32_e32 v9, 16, v12
	v_and_or_b32 v8, 0x8000, v6, v0
	v_and_or_b32 v0, 0x1ff, v5, v4
	s_or_b32 vcc_lo, s0, vcc_lo
	global_store_dword v[2:3], v14, off
	v_add_co_ci_u32_e32 v4, vcc_lo, 0, v7, vcc_lo
	v_mul_f64 v[6:7], v[10:11], s[4:5]
	v_cmp_ne_u32_e32 vcc_lo, 0, v0
	v_lshrrev_b32_e32 v10, 8, v5
	v_bfe_u32 v11, v5, 20, 11
	v_mul_f16_sdwa v13, v33, v9 dst_sel:DWORD dst_unused:UNUSED_PAD src0_sel:WORD_1 src1_sel:DWORD
	v_and_b32_e32 v8, 0xffff, v8
	v_cndmask_b32_e64 v0, 0, 1, vcc_lo
	v_cmp_ne_u32_e32 vcc_lo, 0, v18
	s_mul_i32 s0, s9, 0x58
	v_fmac_f16_e32 v13, v33, v12
	s_mul_hi_u32 s2, s8, 0x58
	v_and_or_b32 v10, 0xffe, v10, v0
	v_cndmask_b32_e64 v16, 0, 1, vcc_lo
	v_sub_nc_u32_e32 v0, 0x3f1, v11
	v_cmp_gt_i32_e32 vcc_lo, 31, v15
	s_add_i32 s2, s2, s0
	v_or_b32_e32 v17, 0x1000, v10
	v_lshl_or_b32 v16, v16, 9, 0x7c00
	v_med3_i32 v18, v0, 0, 13
	v_cndmask_b32_e32 v4, 0x7c00, v4, vcc_lo
	v_cmp_eq_u32_e32 vcc_lo, 0x40f, v15
	v_cvt_f32_f16_e32 v0, v13
	v_lshrrev_b32_e32 v13, 16, v1
	v_lshrrev_b32_e32 v15, v18, v17
	v_and_or_b32 v6, 0x1ff, v7, v6
	v_cndmask_b32_e32 v4, v4, v16, vcc_lo
	v_cvt_f64_f32_e32 v[0:1], v0
	v_lshrrev_b32_e32 v14, 8, v7
	v_bfe_u32 v16, v7, 20, 11
	v_cmp_ne_u32_e32 vcc_lo, 0, v6
	v_and_or_b32 v4, 0x8000, v13, v4
	v_lshlrev_b32_e32 v13, v18, v15
	v_lshrrev_b32_e32 v5, 16, v5
	v_lshrrev_b32_e32 v7, 16, v7
	v_cndmask_b32_e64 v6, 0, 1, vcc_lo
	v_lshl_or_b32 v18, v4, 16, v8
	v_cmp_ne_u32_e32 vcc_lo, v13, v17
	v_add_nc_u32_e32 v17, 0xfffffc10, v11
	s_mul_i32 s3, s8, 0x58
	v_and_or_b32 v4, 0xffe, v14, v6
	v_sub_nc_u32_e32 v6, 0x3f1, v16
	v_cndmask_b32_e64 v13, 0, 1, vcc_lo
	v_lshl_or_b32 v11, v17, 12, v10
	v_cmp_gt_i32_e32 vcc_lo, 1, v17
	v_med3_i32 v6, v6, 0, 13
	v_or_b32_e32 v8, v15, v13
	v_or_b32_e32 v13, 0x1000, v4
	v_mul_f64 v[0:1], v[0:1], s[4:5]
	v_cndmask_b32_e32 v8, v11, v8, vcc_lo
	v_mul_f16_sdwa v11, v33, v12 dst_sel:DWORD dst_unused:UNUSED_PAD src0_sel:WORD_1 src1_sel:DWORD
	v_lshrrev_b32_e32 v12, v6, v13
	v_and_b32_e32 v14, 7, v8
	v_fma_f16 v9, v33, v9, -v11
	v_lshlrev_b32_e32 v6, v6, v12
	v_lshrrev_b32_e32 v11, 2, v8
	v_cmp_lt_i32_e32 vcc_lo, 5, v14
	v_cmp_eq_u32_e64 s0, 3, v14
	v_cmp_ne_u32_e64 s1, v6, v13
	v_cvt_f32_f16_e32 v9, v9
	v_add_nc_u32_e32 v13, 0xfffffc10, v16
	s_or_b32 vcc_lo, s0, vcc_lo
	v_cndmask_b32_e64 v6, 0, 1, s1
	v_add_co_ci_u32_e32 v14, vcc_lo, 0, v11, vcc_lo
	v_cmp_ne_u32_e32 vcc_lo, 0, v10
	v_cvt_f64_f32_e32 v[8:9], v9
	v_or_b32_e32 v6, v12, v6
	v_lshl_or_b32 v11, v13, 12, v4
	v_and_or_b32 v0, 0x1ff, v1, v0
	v_cndmask_b32_e64 v12, 0, 1, vcc_lo
	v_cmp_gt_i32_e32 vcc_lo, 1, v13
	v_lshrrev_b32_e32 v15, 8, v1
	v_bfe_u32 v16, v1, 20, 11
	v_lshl_or_b32 v12, v12, 9, 0x7c00
	v_cndmask_b32_e32 v6, v11, v6, vcc_lo
	v_cmp_ne_u32_e32 vcc_lo, 0, v0
	ds_read2_b32 v[10:11], v27 offset0:88 offset1:110
	v_and_b32_e32 v19, 7, v6
	v_cndmask_b32_e64 v0, 0, 1, vcc_lo
	v_cmp_gt_i32_e32 vcc_lo, 31, v17
	v_cmp_eq_u32_e64 s0, 3, v19
	v_and_or_b32 v0, 0xffe, v15, v0
	v_cndmask_b32_e32 v14, 0x7c00, v14, vcc_lo
	v_cmp_eq_u32_e32 vcc_lo, 0x40f, v17
	v_mul_f64 v[8:9], v[8:9], s[4:5]
	v_sub_nc_u32_e32 v15, 0x3f1, v16
	v_cndmask_b32_e32 v12, v14, v12, vcc_lo
	v_cmp_lt_i32_e32 vcc_lo, 5, v19
	v_or_b32_e32 v14, 0x1000, v0
	v_med3_i32 v15, v15, 0, 13
	v_and_or_b32 v12, 0x8000, v5, v12
	v_lshrrev_b32_e32 v5, 2, v6
	s_or_b32 vcc_lo, s0, vcc_lo
	v_lshrrev_b32_e32 v17, v15, v14
	s_waitcnt lgkmcnt(0)
	v_lshrrev_b32_e32 v6, 16, v10
	v_and_b32_e32 v12, 0xffff, v12
	v_add_co_ci_u32_e32 v5, vcc_lo, 0, v5, vcc_lo
	v_cmp_ne_u32_e32 vcc_lo, 0, v4
	v_lshlrev_b32_e32 v15, v15, v17
	v_mul_f16_sdwa v19, v32, v6 dst_sel:DWORD dst_unused:UNUSED_PAD src0_sel:WORD_1 src1_sel:DWORD
	v_cndmask_b32_e64 v4, 0, 1, vcc_lo
	v_cmp_gt_i32_e32 vcc_lo, 31, v13
	v_fmac_f16_e32 v19, v32, v10
	v_mul_f16_sdwa v10, v32, v10 dst_sel:DWORD dst_unused:UNUSED_PAD src0_sel:WORD_1 src1_sel:DWORD
	v_lshl_or_b32 v21, v4, 9, 0x7c00
	v_cndmask_b32_e32 v20, 0x7c00, v5, vcc_lo
	v_and_or_b32 v4, 0x1ff, v9, v8
	v_cmp_ne_u32_e32 vcc_lo, v15, v14
	v_cvt_f32_f16_e32 v5, v19
	v_add_nc_u32_e32 v14, 0xfffffc10, v16
	v_lshrrev_b32_e32 v16, 8, v9
	v_bfe_u32 v19, v9, 20, 11
	v_cndmask_b32_e64 v8, 0, 1, vcc_lo
	v_cmp_ne_u32_e32 vcc_lo, 0, v4
	v_cvt_f64_f32_e32 v[4:5], v5
	v_fma_f16 v6, v32, v6, -v10
	v_add_nc_u32_e32 v10, 0xfffffc10, v19
	v_or_b32_e32 v8, v17, v8
	v_cndmask_b32_e64 v15, 0, 1, vcc_lo
	v_cmp_eq_u32_e32 vcc_lo, 0x40f, v13
	v_lshl_or_b32 v17, v14, 12, v0
	v_cvt_f32_f16_e32 v6, v6
	v_lshrrev_b32_e32 v9, 16, v9
	v_and_or_b32 v15, 0xffe, v16, v15
	v_cndmask_b32_e32 v13, v20, v21, vcc_lo
	v_sub_nc_u32_e32 v16, 0x3f1, v19
	v_cmp_gt_i32_e32 vcc_lo, 1, v14
	v_and_or_b32 v7, 0x8000, v7, v13
	v_med3_i32 v16, v16, 0, 13
	v_cndmask_b32_e32 v8, v17, v8, vcc_lo
	v_or_b32_e32 v17, 0x1000, v15
	v_add_co_u32 v2, vcc_lo, v2, s3
	v_add_co_ci_u32_e32 v3, vcc_lo, s2, v3, vcc_lo
	v_lshrrev_b32_e32 v13, v16, v17
	v_and_b32_e32 v20, 7, v8
	v_mul_f64 v[4:5], v[4:5], s[4:5]
	global_store_dword v[2:3], v18, off
	v_lshl_or_b32 v18, v7, 16, v12
	v_lshlrev_b32_e32 v16, v16, v13
	v_cmp_lt_i32_e32 vcc_lo, 5, v20
	v_lshrrev_b32_e32 v8, 2, v8
	v_cmp_ne_u32_e64 s0, v16, v17
	v_cndmask_b32_e64 v7, 0, 1, s0
	v_cmp_eq_u32_e64 s0, 3, v20
	v_or_b32_e32 v12, v13, v7
	s_or_b32 vcc_lo, s0, vcc_lo
	v_cvt_f64_f32_e32 v[6:7], v6
	v_add_co_ci_u32_e32 v8, vcc_lo, 0, v8, vcc_lo
	v_cmp_ne_u32_e32 vcc_lo, 0, v0
	v_lshl_or_b32 v13, v10, 12, v15
	v_and_or_b32 v4, 0x1ff, v5, v4
	v_lshrrev_b32_e32 v16, 8, v5
	v_bfe_u32 v17, v5, 20, 11
	v_cndmask_b32_e64 v0, 0, 1, vcc_lo
	v_cmp_gt_i32_e32 vcc_lo, 1, v10
	v_lshl_or_b32 v0, v0, 9, 0x7c00
	v_cndmask_b32_e32 v12, v13, v12, vcc_lo
	v_cmp_gt_i32_e32 vcc_lo, 31, v14
	v_and_b32_e32 v13, 7, v12
	v_cndmask_b32_e32 v8, 0x7c00, v8, vcc_lo
	v_cmp_ne_u32_e32 vcc_lo, 0, v4
	v_cmp_eq_u32_e64 s0, 3, v13
	v_cndmask_b32_e64 v4, 0, 1, vcc_lo
	v_cmp_eq_u32_e32 vcc_lo, 0x40f, v14
	v_lshrrev_b32_e32 v14, 16, v1
	v_and_or_b32 v4, 0xffe, v16, v4
	v_cndmask_b32_e32 v8, v8, v0, vcc_lo
	v_cmp_lt_i32_e32 vcc_lo, 5, v13
	v_mul_f64 v[0:1], v[6:7], s[4:5]
	v_lshrrev_b32_e32 v6, 2, v12
	v_sub_nc_u32_e32 v16, 0x3f1, v17
	v_or_b32_e32 v7, 0x1000, v4
	s_or_b32 vcc_lo, s0, vcc_lo
	v_lshrrev_b32_e32 v13, 16, v11
	v_add_co_ci_u32_e32 v6, vcc_lo, 0, v6, vcc_lo
	v_med3_i32 v12, v16, 0, 13
	v_cmp_ne_u32_e32 vcc_lo, 0, v15
	v_mul_f16_sdwa v19, v31, v13 dst_sel:DWORD dst_unused:UNUSED_PAD src0_sel:WORD_1 src1_sel:DWORD
	v_and_or_b32 v8, 0x8000, v14, v8
	v_add_nc_u32_e32 v14, 0xfffffc10, v17
	v_lshrrev_b32_e32 v16, v12, v7
	v_cndmask_b32_e64 v15, 0, 1, vcc_lo
	v_cmp_gt_i32_e32 vcc_lo, 31, v10
	v_fmac_f16_e32 v19, v31, v11
	v_and_b32_e32 v8, 0xffff, v8
	v_lshlrev_b32_e32 v12, v12, v16
	v_lshl_or_b32 v15, v15, 9, 0x7c00
	v_cndmask_b32_e32 v6, 0x7c00, v6, vcc_lo
	v_cmp_eq_u32_e32 vcc_lo, 0x40f, v10
	v_and_or_b32 v0, 0x1ff, v1, v0
	v_bfe_u32 v17, v1, 20, 11
	v_mul_f16_sdwa v11, v31, v11 dst_sel:DWORD dst_unused:UNUSED_PAD src0_sel:WORD_1 src1_sel:DWORD
	v_cndmask_b32_e32 v10, v6, v15, vcc_lo
	v_cmp_ne_u32_e32 vcc_lo, v12, v7
	v_cvt_f32_f16_e32 v6, v19
	v_lshrrev_b32_e32 v15, 8, v1
	v_fma_f16 v11, v31, v13, -v11
	v_and_or_b32 v9, 0x8000, v9, v10
	v_cndmask_b32_e64 v12, 0, 1, vcc_lo
	v_cmp_ne_u32_e32 vcc_lo, 0, v0
	v_cvt_f64_f32_e32 v[6:7], v6
	v_cvt_f32_f16_e32 v11, v11
	v_or_b32_e32 v10, v16, v12
	v_cndmask_b32_e64 v0, 0, 1, vcc_lo
	v_lshl_or_b32 v12, v14, 12, v4
	v_cmp_gt_i32_e32 vcc_lo, 1, v14
	v_lshl_or_b32 v16, v9, 16, v8
	v_and_or_b32 v0, 0xffe, v15, v0
	v_sub_nc_u32_e32 v15, 0x3f1, v17
	v_cndmask_b32_e32 v10, v12, v10, vcc_lo
	v_add_co_u32 v2, vcc_lo, v2, s3
	v_or_b32_e32 v12, 0x1000, v0
	v_med3_i32 v15, v15, 0, 13
	v_add_co_ci_u32_e32 v3, vcc_lo, s2, v3, vcc_lo
	v_and_b32_e32 v19, 7, v10
	v_add_co_u32 v8, vcc_lo, v2, s3
	v_lshrrev_b32_e32 v20, v15, v12
	v_mul_f64 v[6:7], v[6:7], s[4:5]
	v_add_co_ci_u32_e32 v9, vcc_lo, s2, v3, vcc_lo
	v_cmp_lt_i32_e32 vcc_lo, 5, v19
	v_lshlrev_b32_e32 v15, v15, v20
	v_cmp_eq_u32_e64 s0, 3, v19
	v_lshrrev_b32_e32 v10, 2, v10
	v_cmp_ne_u32_e64 s1, v15, v12
	s_or_b32 vcc_lo, s0, vcc_lo
	v_add_nc_u32_e32 v15, 0xfffffc10, v17
	v_add_co_ci_u32_e32 v17, vcc_lo, 0, v10, vcc_lo
	v_cndmask_b32_e64 v12, 0, 1, s1
	v_cmp_ne_u32_e32 vcc_lo, 0, v4
	v_cvt_f64_f32_e32 v[10:11], v11
	v_or_b32_e32 v19, v20, v12
	v_lshl_or_b32 v20, v15, 12, v0
	v_cndmask_b32_e64 v4, 0, 1, vcc_lo
	v_cmp_gt_i32_e32 vcc_lo, 1, v15
	v_and_or_b32 v6, 0x1ff, v7, v6
	ds_read2_b32 v[12:13], v27 offset0:132 offset1:154
	v_lshrrev_b32_e32 v21, 8, v7
	v_lshl_or_b32 v4, v4, 9, 0x7c00
	v_cndmask_b32_e32 v19, v20, v19, vcc_lo
	v_cmp_gt_i32_e32 vcc_lo, 31, v14
	v_bfe_u32 v22, v7, 20, 11
	global_store_dword v[2:3], v18, off
	global_store_dword v[8:9], v16, off
	v_lshrrev_b32_e32 v7, 16, v7
	v_and_b32_e32 v20, 7, v19
	v_cndmask_b32_e32 v17, 0x7c00, v17, vcc_lo
	v_cmp_ne_u32_e32 vcc_lo, 0, v6
	v_cmp_eq_u32_e64 s0, 3, v20
	v_cndmask_b32_e64 v6, 0, 1, vcc_lo
	v_cmp_eq_u32_e32 vcc_lo, 0x40f, v14
	v_and_or_b32 v6, 0xffe, v21, v6
	v_cndmask_b32_e32 v14, v17, v4, vcc_lo
	v_cmp_lt_i32_e32 vcc_lo, 5, v20
	v_lshrrev_b32_e32 v17, 16, v5
	v_mul_f64 v[4:5], v[10:11], s[4:5]
	v_lshrrev_b32_e32 v11, 2, v19
	v_sub_nc_u32_e32 v21, 0x3f1, v22
	s_or_b32 vcc_lo, s0, vcc_lo
	v_or_b32_e32 v19, 0x1000, v6
	s_waitcnt lgkmcnt(0)
	v_lshrrev_b32_e32 v10, 16, v12
	v_add_co_ci_u32_e32 v11, vcc_lo, 0, v11, vcc_lo
	v_med3_i32 v20, v21, 0, 13
	v_cmp_ne_u32_e32 vcc_lo, 0, v0
	v_mul_f16_sdwa v21, v30, v10 dst_sel:DWORD dst_unused:UNUSED_PAD src0_sel:WORD_1 src1_sel:DWORD
	v_and_or_b32 v14, 0x8000, v17, v14
	v_lshrrev_b32_e32 v23, v20, v19
	v_cndmask_b32_e64 v0, 0, 1, vcc_lo
	v_cmp_gt_i32_e32 vcc_lo, 31, v15
	v_fmac_f16_e32 v21, v30, v12
	v_and_b32_e32 v14, 0xffff, v14
	v_lshlrev_b32_e32 v17, v20, v23
	v_lshl_or_b32 v0, v0, 9, 0x7c00
	v_cndmask_b32_e32 v11, 0x7c00, v11, vcc_lo
	v_cmp_eq_u32_e32 vcc_lo, 0x40f, v15
	v_and_or_b32 v4, 0x1ff, v5, v4
	v_cvt_f32_f16_e32 v20, v21
	v_lshrrev_b32_e32 v15, 16, v1
	v_bfe_u32 v21, v5, 20, 11
	v_cndmask_b32_e32 v11, v11, v0, vcc_lo
	v_cmp_ne_u32_e32 vcc_lo, v17, v19
	v_cvt_f64_f32_e32 v[0:1], v20
	v_add_nc_u32_e32 v19, 0xfffffc10, v22
	v_lshrrev_b32_e32 v20, 8, v5
	v_and_or_b32 v11, 0x8000, v15, v11
	v_cndmask_b32_e64 v17, 0, 1, vcc_lo
	v_cmp_ne_u32_e32 vcc_lo, 0, v4
	v_lshl_or_b32 v11, v11, 16, v14
	v_or_b32_e32 v15, v23, v17
	v_cndmask_b32_e64 v4, 0, 1, vcc_lo
	v_lshl_or_b32 v17, v19, 12, v6
	v_cmp_gt_i32_e32 vcc_lo, 1, v19
	v_and_or_b32 v4, 0xffe, v20, v4
	v_sub_nc_u32_e32 v20, 0x3f1, v21
	v_cndmask_b32_e32 v15, v17, v15, vcc_lo
	v_add_co_u32 v2, vcc_lo, v8, s3
	v_or_b32_e32 v17, 0x1000, v4
	v_med3_i32 v20, v20, 0, 13
	v_and_b32_e32 v14, 7, v15
	v_mul_f64 v[0:1], v[0:1], s[4:5]
	v_add_co_ci_u32_e32 v3, vcc_lo, s2, v9, vcc_lo
	v_lshrrev_b32_e32 v16, v20, v17
	v_cmp_lt_i32_e32 vcc_lo, 5, v14
	v_cmp_eq_u32_e64 s0, 3, v14
	v_mul_f16_sdwa v9, v30, v12 dst_sel:DWORD dst_unused:UNUSED_PAD src0_sel:WORD_1 src1_sel:DWORD
	v_lshrrev_b32_e32 v12, 2, v15
	v_lshlrev_b32_e32 v8, v20, v16
	global_store_dword v[2:3], v11, off
	s_or_b32 vcc_lo, s0, vcc_lo
	v_fma_f16 v9, v30, v10, -v9
	v_add_co_ci_u32_e32 v12, vcc_lo, 0, v12, vcc_lo
	v_cmp_ne_u32_e64 s1, v8, v17
	v_add_nc_u32_e32 v10, 0xfffffc10, v21
	v_cmp_ne_u32_e32 vcc_lo, 0, v6
	v_cvt_f32_f16_e32 v9, v9
	v_cndmask_b32_e64 v8, 0, 1, s1
	v_lshl_or_b32 v15, v10, 12, v4
	v_cndmask_b32_e64 v6, 0, 1, vcc_lo
	v_cmp_gt_i32_e32 vcc_lo, 1, v10
	v_and_or_b32 v0, 0x1ff, v1, v0
	v_or_b32_e32 v14, v16, v8
	v_cvt_f64_f32_e32 v[8:9], v9
	v_lshl_or_b32 v6, v6, 9, 0x7c00
	v_lshrrev_b32_e32 v16, 8, v1
	v_bfe_u32 v17, v1, 20, 11
	v_cndmask_b32_e32 v14, v15, v14, vcc_lo
	v_cmp_gt_i32_e32 vcc_lo, 31, v19
	v_and_b32_e32 v15, 7, v14
	v_cndmask_b32_e32 v12, 0x7c00, v12, vcc_lo
	v_cmp_ne_u32_e32 vcc_lo, 0, v0
	v_lshrrev_b32_e32 v14, 2, v14
	v_cmp_eq_u32_e64 s0, 3, v15
	v_cndmask_b32_e64 v0, 0, 1, vcc_lo
	v_cmp_eq_u32_e32 vcc_lo, 0x40f, v19
	v_and_or_b32 v0, 0xffe, v16, v0
	v_cndmask_b32_e32 v6, v12, v6, vcc_lo
	v_cmp_lt_i32_e32 vcc_lo, 5, v15
	v_lshrrev_b32_e32 v15, 16, v13
	v_mul_f64 v[8:9], v[8:9], s[4:5]
	v_sub_nc_u32_e32 v12, 0x3f1, v17
	v_or_b32_e32 v16, 0x1000, v0
	s_or_b32 vcc_lo, s0, vcc_lo
	v_mul_f16_sdwa v18, v29, v15 dst_sel:DWORD dst_unused:UNUSED_PAD src0_sel:WORD_1 src1_sel:DWORD
	v_add_co_ci_u32_e32 v14, vcc_lo, 0, v14, vcc_lo
	v_cmp_ne_u32_e32 vcc_lo, 0, v4
	v_med3_i32 v12, v12, 0, 13
	v_fmac_f16_e32 v18, v29, v13
	v_and_or_b32 v6, 0x8000, v7, v6
	v_mul_f16_sdwa v13, v29, v13 dst_sel:DWORD dst_unused:UNUSED_PAD src0_sel:WORD_1 src1_sel:DWORD
	v_cndmask_b32_e64 v4, 0, 1, vcc_lo
	v_cmp_gt_i32_e32 vcc_lo, 31, v10
	v_lshrrev_b32_e32 v19, v12, v16
	v_cvt_f32_f16_e32 v18, v18
	v_and_b32_e32 v6, 0xffff, v6
	v_lshl_or_b32 v4, v4, 9, 0x7c00
	v_cndmask_b32_e32 v14, 0x7c00, v14, vcc_lo
	v_cmp_eq_u32_e32 vcc_lo, 0x40f, v10
	v_lshlrev_b32_e32 v12, v12, v19
	v_and_or_b32 v8, 0x1ff, v9, v8
	v_cndmask_b32_e32 v10, v14, v4, vcc_lo
	v_lshrrev_b32_e32 v14, 16, v5
	v_cvt_f64_f32_e32 v[4:5], v18
	v_cmp_ne_u32_e32 vcc_lo, v12, v16
	v_add_nc_u32_e32 v16, 0xfffffc10, v17
	v_bfe_u32 v17, v9, 20, 11
	v_and_or_b32 v7, 0x8000, v14, v10
	v_lshrrev_b32_e32 v14, 8, v9
	v_cndmask_b32_e64 v12, 0, 1, vcc_lo
	v_cmp_ne_u32_e32 vcc_lo, 0, v8
	v_sub_nc_u32_e32 v11, 0x3f1, v17
	v_lshl_or_b32 v6, v7, 16, v6
	v_lshrrev_b32_e32 v9, 16, v9
	v_or_b32_e32 v10, v19, v12
	v_cndmask_b32_e64 v8, 0, 1, vcc_lo
	v_lshl_or_b32 v12, v16, 12, v0
	v_cmp_gt_i32_e32 vcc_lo, 1, v16
	v_med3_i32 v11, v11, 0, 13
	v_and_or_b32 v8, 0xffe, v14, v8
	v_cndmask_b32_e32 v10, v12, v10, vcc_lo
	v_add_co_u32 v2, vcc_lo, v2, s3
	v_mul_f64 v[4:5], v[4:5], s[4:5]
	v_or_b32_e32 v12, 0x1000, v8
	v_and_b32_e32 v7, 7, v10
	v_add_co_ci_u32_e32 v3, vcc_lo, s2, v3, vcc_lo
	v_lshrrev_b32_e32 v14, v11, v12
	v_cmp_lt_i32_e32 vcc_lo, 5, v7
	v_cmp_eq_u32_e64 s0, 3, v7
	global_store_dword v[2:3], v6, off
	v_lshrrev_b32_e32 v6, 2, v10
	v_lshlrev_b32_e32 v10, v11, v14
	v_fma_f16 v11, v29, v15, -v13
	s_or_b32 vcc_lo, s0, vcc_lo
	v_add_nc_u32_e32 v15, 0xfffffc10, v17
	v_add_co_ci_u32_e32 v13, vcc_lo, 0, v6, vcc_lo
	v_cmp_ne_u32_e32 vcc_lo, v10, v12
	ds_read2_b32 v[6:7], v27 offset0:176 offset1:198
	v_cvt_f32_f16_e32 v10, v11
	v_cndmask_b32_e64 v12, 0, 1, vcc_lo
	v_and_or_b32 v4, 0x1ff, v5, v4
	v_cmp_gt_i32_e32 vcc_lo, 31, v16
	v_cvt_f64_f32_e32 v[10:11], v10
	v_lshrrev_b32_e32 v17, 8, v5
	v_or_b32_e32 v12, v14, v12
	v_lshl_or_b32 v14, v15, 12, v8
	v_cndmask_b32_e32 v13, 0x7c00, v13, vcc_lo
	v_cmp_ne_u32_e32 vcc_lo, 0, v4
	v_bfe_u32 v18, v5, 20, 11
	v_cndmask_b32_e64 v4, 0, 1, vcc_lo
	v_cmp_ne_u32_e32 vcc_lo, 0, v0
	v_and_or_b32 v4, 0xffe, v17, v4
	v_cndmask_b32_e64 v0, 0, 1, vcc_lo
	v_cmp_gt_i32_e32 vcc_lo, 1, v15
	s_waitcnt lgkmcnt(0)
	v_lshrrev_b32_e32 v17, 16, v6
	v_or_b32_e32 v20, 0x1000, v4
	v_lshl_or_b32 v0, v0, 9, 0x7c00
	v_cndmask_b32_e32 v12, v14, v12, vcc_lo
	v_sub_nc_u32_e32 v14, 0x3f1, v18
	v_cmp_eq_u32_e32 vcc_lo, 0x40f, v16
	v_mul_f16_sdwa v21, v28, v17 dst_sel:DWORD dst_unused:UNUSED_PAD src0_sel:WORD_1 src1_sel:DWORD
	v_mul_f64 v[10:11], v[10:11], s[4:5]
	v_and_b32_e32 v19, 7, v12
	v_med3_i32 v14, v14, 0, 13
	v_cndmask_b32_e32 v13, v13, v0, vcc_lo
	v_lshrrev_b32_e32 v0, 2, v12
	v_fmac_f16_e32 v21, v28, v6
	v_cmp_lt_i32_e32 vcc_lo, 5, v19
	v_cmp_eq_u32_e64 s0, 3, v19
	v_lshrrev_b32_e32 v16, v14, v20
	v_lshrrev_b32_e32 v19, 16, v1
	v_cvt_f32_f16_e32 v1, v21
	v_add_nc_u32_e32 v18, 0xfffffc10, v18
	s_or_b32 vcc_lo, s0, vcc_lo
	v_lshlrev_b32_e32 v12, v14, v16
	v_add_co_ci_u32_e32 v14, vcc_lo, 0, v0, vcc_lo
	v_cmp_ne_u32_e32 vcc_lo, 0, v8
	v_cvt_f64_f32_e32 v[0:1], v1
	v_and_or_b32 v13, 0x8000, v19, v13
	v_mul_f16_sdwa v6, v28, v6 dst_sel:DWORD dst_unused:UNUSED_PAD src0_sel:WORD_1 src1_sel:DWORD
	v_lshrrev_b32_e32 v21, 16, v7
	v_cndmask_b32_e64 v8, 0, 1, vcc_lo
	v_cmp_ne_u32_e32 vcc_lo, v12, v20
	v_and_or_b32 v10, 0x1ff, v11, v10
	v_and_b32_e32 v13, 0xffff, v13
	v_fma_f16 v6, v28, v17, -v6
	v_lshl_or_b32 v8, v8, 9, 0x7c00
	v_cndmask_b32_e64 v12, 0, 1, vcc_lo
	v_cmp_gt_i32_e32 vcc_lo, 31, v15
	v_cvt_f32_f16_e32 v6, v6
	v_or_b32_e32 v12, v16, v12
	v_cndmask_b32_e32 v14, 0x7c00, v14, vcc_lo
	v_cmp_eq_u32_e32 vcc_lo, 0x40f, v15
	v_lshl_or_b32 v16, v18, 12, v4
	v_bfe_u32 v15, v11, 20, 11
	v_cndmask_b32_e32 v8, v14, v8, vcc_lo
	v_cmp_gt_i32_e32 vcc_lo, 1, v18
	v_lshrrev_b32_e32 v14, 8, v11
	v_mul_f64 v[0:1], v[0:1], s[4:5]
	v_lshrrev_b32_e32 v11, 16, v11
	v_and_or_b32 v8, 0x8000, v9, v8
	v_cndmask_b32_e32 v12, v16, v12, vcc_lo
	v_cmp_ne_u32_e32 vcc_lo, 0, v10
	v_lshl_or_b32 v13, v8, 16, v13
	v_and_b32_e32 v16, 7, v12
	v_cndmask_b32_e64 v10, 0, 1, vcc_lo
	v_lshrrev_b32_e32 v12, 2, v12
	v_cmp_lt_i32_e32 vcc_lo, 5, v16
	v_and_or_b32 v10, 0xffe, v14, v10
	v_sub_nc_u32_e32 v14, 0x3f1, v15
	v_cmp_eq_u32_e64 s0, 3, v16
	v_or_b32_e32 v9, 0x1000, v10
	v_med3_i32 v14, v14, 0, 13
	s_or_b32 vcc_lo, s0, vcc_lo
	v_and_or_b32 v0, 0x1ff, v1, v0
	v_add_co_ci_u32_e32 v12, vcc_lo, 0, v12, vcc_lo
	v_lshrrev_b32_e32 v16, v14, v9
	v_cmp_gt_i32_e32 vcc_lo, 31, v18
	v_bfe_u32 v17, v1, 20, 11
	v_lshlrev_b32_e32 v8, v14, v16
	v_cndmask_b32_e32 v12, 0x7c00, v12, vcc_lo
	v_cmp_ne_u32_e32 vcc_lo, v8, v9
	v_cvt_f64_f32_e32 v[8:9], v6
	v_add_nc_u32_e32 v6, 0xfffffc10, v15
	v_lshrrev_b32_e32 v15, 8, v1
	v_cndmask_b32_e64 v14, 0, 1, vcc_lo
	v_cmp_ne_u32_e32 vcc_lo, 0, v0
	v_or_b32_e32 v14, v16, v14
	v_cndmask_b32_e64 v0, 0, 1, vcc_lo
	v_cmp_ne_u32_e32 vcc_lo, 0, v4
	v_lshl_or_b32 v16, v6, 12, v10
	v_and_or_b32 v0, 0xffe, v15, v0
	v_cndmask_b32_e64 v4, 0, 1, vcc_lo
	v_cmp_gt_i32_e32 vcc_lo, 1, v6
	v_sub_nc_u32_e32 v15, 0x3f1, v17
	v_lshl_or_b32 v4, v4, 9, 0x7c00
	v_cndmask_b32_e32 v14, v16, v14, vcc_lo
	v_cmp_eq_u32_e32 vcc_lo, 0x40f, v18
	v_or_b32_e32 v16, 0x1000, v0
	v_med3_i32 v15, v15, 0, 13
	v_lshrrev_b32_e32 v18, 16, v5
	v_and_b32_e32 v19, 7, v14
	v_cndmask_b32_e32 v12, v12, v4, vcc_lo
	v_mul_f64 v[4:5], v[8:9], s[4:5]
	v_lshrrev_b32_e32 v20, v15, v16
	v_add_co_u32 v2, vcc_lo, v2, s3
	v_add_co_ci_u32_e32 v3, vcc_lo, s2, v3, vcc_lo
	v_lshlrev_b32_e32 v9, v15, v20
	v_mul_f16_sdwa v8, v26, v21 dst_sel:DWORD dst_unused:UNUSED_PAD src0_sel:WORD_1 src1_sel:DWORD
	v_cmp_lt_i32_e32 vcc_lo, 5, v19
	v_cmp_eq_u32_e64 s0, 3, v19
	v_lshrrev_b32_e32 v14, 2, v14
	v_cmp_ne_u32_e64 s1, v9, v16
	v_fmac_f16_e32 v8, v26, v7
	v_add_nc_u32_e32 v15, 0xfffffc10, v17
	s_or_b32 vcc_lo, s0, vcc_lo
	v_and_or_b32 v12, 0x8000, v18, v12
	v_add_co_ci_u32_e32 v14, vcc_lo, 0, v14, vcc_lo
	v_cndmask_b32_e64 v9, 0, 1, s1
	v_cmp_ne_u32_e32 vcc_lo, 0, v10
	v_cvt_f32_f16_e32 v8, v8
	v_lshl_or_b32 v17, v15, 12, v0
	v_and_or_b32 v4, 0x1ff, v5, v4
	v_or_b32_e32 v16, v20, v9
	v_cndmask_b32_e64 v10, 0, 1, vcc_lo
	v_cmp_gt_i32_e32 vcc_lo, 1, v15
	v_cvt_f64_f32_e32 v[8:9], v8
	v_bfe_u32 v18, v5, 20, 11
	v_and_b32_e32 v12, 0xffff, v12
	v_lshl_or_b32 v10, v10, 9, 0x7c00
	v_cndmask_b32_e32 v16, v17, v16, vcc_lo
	v_cmp_ne_u32_e32 vcc_lo, 0, v4
	v_lshrrev_b32_e32 v17, 8, v5
	v_mul_f16_sdwa v7, v26, v7 dst_sel:DWORD dst_unused:UNUSED_PAD src0_sel:WORD_1 src1_sel:DWORD
	v_and_b32_e32 v19, 7, v16
	v_cndmask_b32_e64 v4, 0, 1, vcc_lo
	v_cmp_gt_i32_e32 vcc_lo, 31, v6
	v_fma_f16 v7, v26, v21, -v7
	v_cmp_eq_u32_e64 s0, 3, v19
	v_and_or_b32 v4, 0xffe, v17, v4
	v_cndmask_b32_e32 v14, 0x7c00, v14, vcc_lo
	v_cmp_eq_u32_e32 vcc_lo, 0x40f, v6
	ds_read_b32 v17, v27 offset:880
	v_cndmask_b32_e32 v6, v14, v10, vcc_lo
	v_sub_nc_u32_e32 v10, 0x3f1, v18
	v_cmp_lt_i32_e32 vcc_lo, 5, v19
	v_mul_f64 v[8:9], v[8:9], s[4:5]
	v_or_b32_e32 v14, 0x1000, v4
	v_and_or_b32 v6, 0x8000, v11, v6
	v_lshrrev_b32_e32 v11, 2, v16
	v_med3_i32 v10, v10, 0, 13
	s_or_b32 vcc_lo, s0, vcc_lo
	v_lshl_or_b32 v12, v6, 16, v12
	v_add_co_ci_u32_e32 v11, vcc_lo, 0, v11, vcc_lo
	v_lshrrev_b32_e32 v16, v10, v14
	v_cmp_ne_u32_e32 vcc_lo, 0, v0
	v_lshlrev_b32_e32 v6, v10, v16
	v_cndmask_b32_e64 v0, 0, 1, vcc_lo
	v_cmp_gt_i32_e32 vcc_lo, 31, v15
	v_lshl_or_b32 v0, v0, 9, 0x7c00
	v_cndmask_b32_e32 v10, 0x7c00, v11, vcc_lo
	v_cmp_ne_u32_e32 vcc_lo, v6, v14
	v_and_or_b32 v8, 0x1ff, v9, v8
	v_add_nc_u32_e32 v14, 0xfffffc10, v18
	v_lshrrev_b32_e32 v18, 16, v1
	v_cndmask_b32_e64 v6, 0, 1, vcc_lo
	v_cmp_eq_u32_e32 vcc_lo, 0x40f, v15
	v_lshl_or_b32 v11, v14, 12, v4
	v_lshrrev_b32_e32 v15, 8, v9
	v_cndmask_b32_e32 v10, v10, v0, vcc_lo
	v_cmp_ne_u32_e32 vcc_lo, 0, v8
	v_or_b32_e32 v0, v16, v6
	v_cvt_f32_f16_e32 v6, v7
	v_bfe_u32 v16, v9, 20, 11
	v_and_or_b32 v18, 0x8000, v18, v10
	v_cndmask_b32_e64 v8, 0, 1, vcc_lo
	v_cmp_gt_i32_e32 vcc_lo, 1, v14
	v_cvt_f64_f32_e32 v[6:7], v6
	v_lshrrev_b32_e32 v9, 16, v9
	v_and_or_b32 v8, 0xffe, v15, v8
	v_cndmask_b32_e32 v11, v11, v0, vcc_lo
	v_sub_nc_u32_e32 v0, 0x3f1, v16
	s_waitcnt lgkmcnt(0)
	v_lshrrev_b32_e32 v15, 16, v17
	v_add_nc_u32_e32 v16, 0xfffffc10, v16
	v_or_b32_e32 v20, 0x1000, v8
	v_and_b32_e32 v19, 7, v11
	v_med3_i32 v21, v0, 0, 13
	v_mul_f16_sdwa v22, v25, v15 dst_sel:DWORD dst_unused:UNUSED_PAD src0_sel:WORD_1 src1_sel:DWORD
	v_add_co_u32 v0, vcc_lo, v2, s3
	v_add_co_ci_u32_e32 v1, vcc_lo, s2, v3, vcc_lo
	v_lshrrev_b32_e32 v23, v21, v20
	v_fmac_f16_e32 v22, v25, v17
	v_cmp_lt_i32_e32 vcc_lo, 5, v19
	v_cmp_eq_u32_e64 s0, 3, v19
	v_lshrrev_b32_e32 v10, 2, v11
	v_lshlrev_b32_e32 v19, v21, v23
	v_cvt_f32_f16_e32 v11, v22
	v_mul_f64 v[6:7], v[6:7], s[4:5]
	s_or_b32 vcc_lo, s0, vcc_lo
	v_mul_f16_sdwa v17, v25, v17 dst_sel:DWORD dst_unused:UNUSED_PAD src0_sel:WORD_1 src1_sel:DWORD
	v_add_co_ci_u32_e32 v21, vcc_lo, 0, v10, vcc_lo
	v_cmp_ne_u32_e32 vcc_lo, v19, v20
	v_cvt_f64_f32_e32 v[10:11], v11
	v_lshl_or_b32 v20, v16, 12, v8
	v_fma_f16 v15, v25, v15, -v17
	v_cndmask_b32_e64 v19, 0, 1, vcc_lo
	v_cmp_ne_u32_e32 vcc_lo, 0, v4
	v_cvt_f32_f16_e32 v15, v15
	v_or_b32_e32 v19, v23, v19
	v_cndmask_b32_e64 v4, 0, 1, vcc_lo
	v_cmp_gt_i32_e32 vcc_lo, 31, v14
	v_lshl_or_b32 v4, v4, 9, 0x7c00
	v_cndmask_b32_e32 v17, 0x7c00, v21, vcc_lo
	v_cmp_gt_i32_e32 vcc_lo, 1, v16
	v_and_or_b32 v6, 0x1ff, v7, v6
	v_bfe_u32 v21, v7, 20, 11
	v_cndmask_b32_e32 v19, v20, v19, vcc_lo
	v_cmp_eq_u32_e32 vcc_lo, 0x40f, v14
	v_mul_f64 v[10:11], v[10:11], s[4:5]
	v_lshrrev_b32_e32 v20, 8, v7
	v_lshrrev_b32_e32 v7, 16, v7
	v_cndmask_b32_e32 v14, v17, v4, vcc_lo
	v_lshrrev_b32_e32 v17, 16, v5
	v_cvt_f64_f32_e32 v[4:5], v15
	v_cmp_ne_u32_e32 vcc_lo, 0, v6
	v_and_b32_e32 v15, 7, v19
	v_and_or_b32 v14, 0x8000, v17, v14
	v_and_b32_e32 v17, 0xffff, v18
	v_cndmask_b32_e64 v6, 0, 1, vcc_lo
	v_cmp_lt_i32_e32 vcc_lo, 5, v15
	v_cmp_eq_u32_e64 s0, 3, v15
	v_lshrrev_b32_e32 v15, 2, v19
	v_sub_nc_u32_e32 v18, 0x3f1, v21
	v_and_or_b32 v6, 0xffe, v20, v6
	v_lshl_or_b32 v14, v14, 16, v17
	s_or_b32 vcc_lo, s0, vcc_lo
	v_add_co_ci_u32_e32 v15, vcc_lo, 0, v15, vcc_lo
	v_or_b32_e32 v17, 0x1000, v6
	v_med3_i32 v18, v18, 0, 13
	v_cmp_ne_u32_e32 vcc_lo, 0, v8
	v_and_or_b32 v10, 0x1ff, v11, v10
	v_lshrrev_b32_e32 v20, 8, v11
	v_mul_f64 v[4:5], v[4:5], s[4:5]
	v_lshrrev_b32_e32 v19, v18, v17
	v_cndmask_b32_e64 v8, 0, 1, vcc_lo
	v_cmp_gt_i32_e32 vcc_lo, 31, v16
	v_bfe_u32 v22, v11, 20, 11
	v_lshrrev_b32_e32 v11, 16, v11
	v_lshlrev_b32_e32 v18, v18, v19
	v_lshl_or_b32 v8, v8, 9, 0x7c00
	v_cndmask_b32_e32 v15, 0x7c00, v15, vcc_lo
	v_cmp_ne_u32_e32 vcc_lo, 0, v10
	v_cndmask_b32_e64 v10, 0, 1, vcc_lo
	v_cmp_ne_u32_e32 vcc_lo, v18, v17
	v_add_nc_u32_e32 v18, 0xfffffc10, v21
	v_and_or_b32 v10, 0xffe, v20, v10
	v_cndmask_b32_e64 v17, 0, 1, vcc_lo
	v_sub_nc_u32_e32 v20, 0x3f1, v22
	v_cmp_eq_u32_e32 vcc_lo, 0x40f, v16
	v_lshl_or_b32 v16, v18, 12, v6
	v_and_or_b32 v4, 0x1ff, v5, v4
	v_bfe_u32 v21, v5, 20, 11
	v_cndmask_b32_e32 v8, v15, v8, vcc_lo
	v_or_b32_e32 v15, v19, v17
	v_or_b32_e32 v17, 0x1000, v10
	v_med3_i32 v19, v20, 0, 13
	v_cmp_gt_i32_e32 vcc_lo, 1, v18
	v_lshrrev_b32_e32 v20, 8, v5
	v_and_or_b32 v8, 0x8000, v9, v8
	v_sub_nc_u32_e32 v9, 0x3f1, v21
	v_cndmask_b32_e32 v15, v16, v15, vcc_lo
	v_lshrrev_b32_e32 v16, v19, v17
	v_cmp_ne_u32_e32 vcc_lo, 0, v4
	v_med3_i32 v9, v9, 0, 13
	v_and_b32_e32 v23, 7, v15
	v_lshlrev_b32_e32 v19, v19, v16
	v_cndmask_b32_e64 v4, 0, 1, vcc_lo
	v_lshrrev_b32_e32 v15, 2, v15
	v_cmp_lt_i32_e32 vcc_lo, 5, v23
	v_cmp_ne_u32_e64 s0, v19, v17
	v_and_or_b32 v4, 0xffe, v20, v4
	v_add_nc_u32_e32 v20, 0xfffffc10, v22
	v_cndmask_b32_e64 v17, 0, 1, s0
	v_cmp_eq_u32_e64 s0, 3, v23
	v_or_b32_e32 v19, 0x1000, v4
	v_lshl_or_b32 v22, v20, 12, v10
	v_or_b32_e32 v16, v16, v17
	s_or_b32 vcc_lo, s0, vcc_lo
	v_lshrrev_b32_e32 v17, v9, v19
	v_add_co_ci_u32_e32 v15, vcc_lo, 0, v15, vcc_lo
	v_cmp_gt_i32_e32 vcc_lo, 1, v20
	v_lshlrev_b32_e32 v9, v9, v17
	v_cndmask_b32_e32 v16, v22, v16, vcc_lo
	v_cmp_ne_u32_e32 vcc_lo, 0, v6
	v_cndmask_b32_e64 v6, 0, 1, vcc_lo
	v_cmp_ne_u32_e32 vcc_lo, v9, v19
	v_add_nc_u32_e32 v19, 0xfffffc10, v21
	v_and_b32_e32 v21, 7, v16
	v_lshl_or_b32 v6, v6, 9, 0x7c00
	v_cndmask_b32_e64 v9, 0, 1, vcc_lo
	v_cmp_gt_i32_e32 vcc_lo, 31, v18
	v_cmp_gt_i32_e64 s1, 1, v19
	v_cmp_eq_u32_e64 s0, 3, v21
	v_or_b32_e32 v9, v17, v9
	v_lshl_or_b32 v17, v19, 12, v4
	v_cndmask_b32_e32 v15, 0x7c00, v15, vcc_lo
	v_cmp_lt_i32_e32 vcc_lo, 5, v21
	v_cndmask_b32_e64 v9, v17, v9, s1
	v_cmp_eq_u32_e64 s1, 0x40f, v18
	s_or_b32 vcc_lo, s0, vcc_lo
	v_cndmask_b32_e64 v6, v15, v6, s1
	v_lshrrev_b32_e32 v15, 2, v16
	v_and_b32_e32 v16, 7, v9
	v_lshrrev_b32_e32 v9, 2, v9
	v_cmp_gt_i32_e64 s1, 31, v20
	v_and_or_b32 v6, 0x8000, v7, v6
	v_add_co_ci_u32_e32 v15, vcc_lo, 0, v15, vcc_lo
	v_cmp_ne_u32_e32 vcc_lo, 0, v10
	v_cmp_eq_u32_e64 s0, 3, v16
	v_and_b32_e32 v7, 0xffff, v8
	v_cndmask_b32_e64 v15, 0x7c00, v15, s1
	v_cndmask_b32_e64 v10, 0, 1, vcc_lo
	v_cmp_lt_i32_e32 vcc_lo, 5, v16
	v_lshl_or_b32 v10, v10, 9, 0x7c00
	s_or_b32 vcc_lo, s0, vcc_lo
	v_add_co_ci_u32_e32 v9, vcc_lo, 0, v9, vcc_lo
	v_cmp_ne_u32_e32 vcc_lo, 0, v4
	v_cndmask_b32_e64 v4, 0, 1, vcc_lo
	v_cmp_eq_u32_e32 vcc_lo, 0x40f, v20
	v_lshl_or_b32 v4, v4, 9, 0x7c00
	v_cndmask_b32_e32 v10, v15, v10, vcc_lo
	v_cmp_gt_i32_e32 vcc_lo, 31, v19
	v_and_or_b32 v8, 0x8000, v11, v10
	v_cndmask_b32_e32 v9, 0x7c00, v9, vcc_lo
	v_cmp_eq_u32_e32 vcc_lo, 0x40f, v19
	v_lshrrev_b32_e32 v10, 16, v5
	v_lshl_or_b32 v11, v6, 16, v7
	v_and_b32_e32 v8, 0xffff, v8
	v_cndmask_b32_e32 v9, v9, v4, vcc_lo
	v_add_co_u32 v4, vcc_lo, v0, s3
	v_add_co_ci_u32_e32 v5, vcc_lo, s2, v1, vcc_lo
	v_and_or_b32 v9, 0x8000, v10, v9
	v_add_co_u32 v6, vcc_lo, v4, s3
	v_add_co_ci_u32_e32 v7, vcc_lo, s2, v5, vcc_lo
	v_lshl_or_b32 v10, v9, 16, v8
	v_add_co_u32 v8, vcc_lo, v6, s3
	v_add_co_ci_u32_e32 v9, vcc_lo, s2, v7, vcc_lo
	global_store_dword v[2:3], v13, off
	global_store_dword v[0:1], v12, off
	;; [unrolled: 1-line block ×5, first 2 shown]
.LBB0_10:
	s_endpgm
	.section	.rodata,"a",@progbits
	.p2align	6, 0x0
	.amdhsa_kernel bluestein_single_fwd_len242_dim1_half_op_CI_CI
		.amdhsa_group_segment_fixed_size 4840
		.amdhsa_private_segment_fixed_size 0
		.amdhsa_kernarg_size 104
		.amdhsa_user_sgpr_count 6
		.amdhsa_user_sgpr_private_segment_buffer 1
		.amdhsa_user_sgpr_dispatch_ptr 0
		.amdhsa_user_sgpr_queue_ptr 0
		.amdhsa_user_sgpr_kernarg_segment_ptr 1
		.amdhsa_user_sgpr_dispatch_id 0
		.amdhsa_user_sgpr_flat_scratch_init 0
		.amdhsa_user_sgpr_private_segment_size 0
		.amdhsa_wavefront_size32 1
		.amdhsa_uses_dynamic_stack 0
		.amdhsa_system_sgpr_private_segment_wavefront_offset 0
		.amdhsa_system_sgpr_workgroup_id_x 1
		.amdhsa_system_sgpr_workgroup_id_y 0
		.amdhsa_system_sgpr_workgroup_id_z 0
		.amdhsa_system_sgpr_workgroup_info 0
		.amdhsa_system_vgpr_workitem_id 0
		.amdhsa_next_free_vgpr 161
		.amdhsa_next_free_sgpr 20
		.amdhsa_reserve_vcc 1
		.amdhsa_reserve_flat_scratch 0
		.amdhsa_float_round_mode_32 0
		.amdhsa_float_round_mode_16_64 0
		.amdhsa_float_denorm_mode_32 3
		.amdhsa_float_denorm_mode_16_64 3
		.amdhsa_dx10_clamp 1
		.amdhsa_ieee_mode 1
		.amdhsa_fp16_overflow 0
		.amdhsa_workgroup_processor_mode 1
		.amdhsa_memory_ordered 1
		.amdhsa_forward_progress 0
		.amdhsa_shared_vgpr_count 0
		.amdhsa_exception_fp_ieee_invalid_op 0
		.amdhsa_exception_fp_denorm_src 0
		.amdhsa_exception_fp_ieee_div_zero 0
		.amdhsa_exception_fp_ieee_overflow 0
		.amdhsa_exception_fp_ieee_underflow 0
		.amdhsa_exception_fp_ieee_inexact 0
		.amdhsa_exception_int_div_zero 0
	.end_amdhsa_kernel
	.text
.Lfunc_end0:
	.size	bluestein_single_fwd_len242_dim1_half_op_CI_CI, .Lfunc_end0-bluestein_single_fwd_len242_dim1_half_op_CI_CI
                                        ; -- End function
	.section	.AMDGPU.csdata,"",@progbits
; Kernel info:
; codeLenInByte = 19572
; NumSgprs: 22
; NumVgprs: 161
; ScratchSize: 0
; MemoryBound: 0
; FloatMode: 240
; IeeeMode: 1
; LDSByteSize: 4840 bytes/workgroup (compile time only)
; SGPRBlocks: 2
; VGPRBlocks: 20
; NumSGPRsForWavesPerEU: 22
; NumVGPRsForWavesPerEU: 161
; Occupancy: 5
; WaveLimiterHint : 1
; COMPUTE_PGM_RSRC2:SCRATCH_EN: 0
; COMPUTE_PGM_RSRC2:USER_SGPR: 6
; COMPUTE_PGM_RSRC2:TRAP_HANDLER: 0
; COMPUTE_PGM_RSRC2:TGID_X_EN: 1
; COMPUTE_PGM_RSRC2:TGID_Y_EN: 0
; COMPUTE_PGM_RSRC2:TGID_Z_EN: 0
; COMPUTE_PGM_RSRC2:TIDIG_COMP_CNT: 0
	.text
	.p2alignl 6, 3214868480
	.fill 48, 4, 3214868480
	.type	__hip_cuid_345a71788dbddadb,@object ; @__hip_cuid_345a71788dbddadb
	.section	.bss,"aw",@nobits
	.globl	__hip_cuid_345a71788dbddadb
__hip_cuid_345a71788dbddadb:
	.byte	0                               ; 0x0
	.size	__hip_cuid_345a71788dbddadb, 1

	.ident	"AMD clang version 19.0.0git (https://github.com/RadeonOpenCompute/llvm-project roc-6.4.0 25133 c7fe45cf4b819c5991fe208aaa96edf142730f1d)"
	.section	".note.GNU-stack","",@progbits
	.addrsig
	.addrsig_sym __hip_cuid_345a71788dbddadb
	.amdgpu_metadata
---
amdhsa.kernels:
  - .args:
      - .actual_access:  read_only
        .address_space:  global
        .offset:         0
        .size:           8
        .value_kind:     global_buffer
      - .actual_access:  read_only
        .address_space:  global
        .offset:         8
        .size:           8
        .value_kind:     global_buffer
      - .actual_access:  read_only
        .address_space:  global
        .offset:         16
        .size:           8
        .value_kind:     global_buffer
      - .actual_access:  read_only
        .address_space:  global
        .offset:         24
        .size:           8
        .value_kind:     global_buffer
      - .actual_access:  read_only
        .address_space:  global
        .offset:         32
        .size:           8
        .value_kind:     global_buffer
      - .offset:         40
        .size:           8
        .value_kind:     by_value
      - .address_space:  global
        .offset:         48
        .size:           8
        .value_kind:     global_buffer
      - .address_space:  global
        .offset:         56
        .size:           8
        .value_kind:     global_buffer
      - .address_space:  global
        .offset:         64
        .size:           8
        .value_kind:     global_buffer
      - .address_space:  global
        .offset:         72
        .size:           8
        .value_kind:     global_buffer
      - .offset:         80
        .size:           4
        .value_kind:     by_value
      - .address_space:  global
        .offset:         88
        .size:           8
        .value_kind:     global_buffer
      - .address_space:  global
        .offset:         96
        .size:           8
        .value_kind:     global_buffer
    .group_segment_fixed_size: 4840
    .kernarg_segment_align: 8
    .kernarg_segment_size: 104
    .language:       OpenCL C
    .language_version:
      - 2
      - 0
    .max_flat_workgroup_size: 110
    .name:           bluestein_single_fwd_len242_dim1_half_op_CI_CI
    .private_segment_fixed_size: 0
    .sgpr_count:     22
    .sgpr_spill_count: 0
    .symbol:         bluestein_single_fwd_len242_dim1_half_op_CI_CI.kd
    .uniform_work_group_size: 1
    .uses_dynamic_stack: false
    .vgpr_count:     161
    .vgpr_spill_count: 0
    .wavefront_size: 32
    .workgroup_processor_mode: 1
amdhsa.target:   amdgcn-amd-amdhsa--gfx1030
amdhsa.version:
  - 1
  - 2
...

	.end_amdgpu_metadata
